;; amdgpu-corpus repo=ROCm/rocFFT kind=compiled arch=gfx906 opt=O3
	.text
	.amdgcn_target "amdgcn-amd-amdhsa--gfx906"
	.amdhsa_code_object_version 6
	.protected	bluestein_single_back_len1456_dim1_dp_op_CI_CI ; -- Begin function bluestein_single_back_len1456_dim1_dp_op_CI_CI
	.globl	bluestein_single_back_len1456_dim1_dp_op_CI_CI
	.p2align	8
	.type	bluestein_single_back_len1456_dim1_dp_op_CI_CI,@function
bluestein_single_back_len1456_dim1_dp_op_CI_CI: ; @bluestein_single_back_len1456_dim1_dp_op_CI_CI
; %bb.0:
	s_mov_b64 s[54:55], s[2:3]
	s_mov_b64 s[52:53], s[0:1]
	v_mul_u32_u24_e32 v1, 0x169, v0
	s_add_u32 s52, s52, s7
	v_add_u32_sdwa v3, s6, v1 dst_sel:DWORD dst_unused:UNUSED_PAD src0_sel:DWORD src1_sel:WORD_1
	s_addc_u32 s53, s53, 0
	v_mov_b32_e32 v2, v3
	buffer_store_dword v2, off, s[52:55], 0 offset:4 ; 4-byte Folded Spill
	s_nop 0
	buffer_store_dword v3, off, s[52:55], 0 offset:8 ; 4-byte Folded Spill
	s_load_dwordx4 s[0:3], s[4:5], 0x28
	v_mov_b32_e32 v4, 0
	s_waitcnt lgkmcnt(0)
	v_cmp_gt_u64_e32 vcc, s[0:1], v[3:4]
	s_and_saveexec_b64 s[0:1], vcc
	s_cbranch_execz .LBB0_23
; %bb.1:
	s_load_dwordx2 s[14:15], s[4:5], 0x0
	s_load_dwordx2 s[12:13], s[4:5], 0x38
	s_movk_i32 s0, 0xb6
	v_mul_lo_u16_sdwa v1, v1, s0 dst_sel:DWORD dst_unused:UNUSED_PAD src0_sel:WORD_1 src1_sel:DWORD
	v_sub_u16_e32 v0, v0, v1
	s_movk_i32 s0, 0x70
	v_cmp_gt_u16_e32 vcc, s0, v0
	v_lshlrev_b32_e32 v255, 4, v0
	buffer_store_dword v0, off, s[52:55], 0 ; 4-byte Folded Spill
	s_and_saveexec_b64 s[6:7], vcc
	s_cbranch_execz .LBB0_3
; %bb.2:
	s_load_dwordx2 s[0:1], s[4:5], 0x18
	s_waitcnt lgkmcnt(0)
	s_load_dwordx4 s[8:11], s[0:1], 0x0
	buffer_load_dword v0, off, s[52:55], 0 offset:4 ; 4-byte Folded Reload
	buffer_load_dword v1, off, s[52:55], 0 offset:8 ; 4-byte Folded Reload
	buffer_load_dword v60, off, s[52:55], 0 ; 4-byte Folded Reload
	s_waitcnt vmcnt(2)
	v_mov_b32_e32 v4, v0
	s_waitcnt vmcnt(1) lgkmcnt(0)
	v_mad_u64_u32 v[0:1], s[0:1], s10, v4, 0
	s_waitcnt vmcnt(0)
	v_mad_u64_u32 v[2:3], s[0:1], s8, v60, 0
	v_or_b32_e32 v67, 0x380, v60
	s_movk_i32 s10, 0x3000
	v_mad_u64_u32 v[4:5], s[0:1], s11, v4, v[1:2]
	v_mad_u64_u32 v[5:6], s[0:1], s9, v60, v[3:4]
	v_mov_b32_e32 v1, v4
	v_lshlrev_b64 v[0:1], 4, v[0:1]
	v_mov_b32_e32 v3, v5
	v_mov_b32_e32 v6, s3
	v_lshlrev_b64 v[2:3], 4, v[2:3]
	v_add_co_u32_e64 v63, s[0:1], s2, v0
	v_addc_co_u32_e64 v66, s[0:1], v6, v1, s[0:1]
	v_add_co_u32_e64 v16, s[0:1], v63, v2
	v_addc_co_u32_e64 v17, s[0:1], v66, v3, s[0:1]
	v_mov_b32_e32 v0, s15
	v_add_co_u32_e64 v100, s[0:1], s14, v255
	v_addc_co_u32_e64 v101, s[0:1], 0, v0, s[0:1]
	s_mul_i32 s0, s9, 0x700
	s_mul_hi_u32 s2, s8, 0x700
	s_add_i32 s2, s2, s0
	s_mul_i32 s3, s8, 0x700
	v_mov_b32_e32 v0, s2
	v_add_co_u32_e64 v18, s[0:1], s3, v16
	v_addc_co_u32_e64 v19, s[0:1], v17, v0, s[0:1]
	global_load_dwordx4 v[0:3], v[16:17], off
	global_load_dwordx4 v[4:7], v[18:19], off
	global_load_dwordx4 v[8:11], v255, s[14:15]
	global_load_dwordx4 v[12:15], v255, s[14:15] offset:1792
	v_mov_b32_e32 v16, s2
	v_add_co_u32_e64 v28, s[0:1], s3, v18
	v_addc_co_u32_e64 v29, s[0:1], v19, v16, s[0:1]
	v_mov_b32_e32 v20, s2
	v_add_co_u32_e64 v30, s[0:1], s3, v28
	v_addc_co_u32_e64 v31, s[0:1], v29, v20, s[0:1]
	s_movk_i32 s0, 0x1000
	v_add_co_u32_e64 v40, s[0:1], s0, v100
	v_addc_co_u32_e64 v41, s[0:1], 0, v101, s[0:1]
	global_load_dwordx4 v[16:19], v255, s[14:15] offset:3584
	global_load_dwordx4 v[20:23], v[28:29], off
	global_load_dwordx4 v[24:27], v[30:31], off
	v_mov_b32_e32 v28, s2
	v_add_co_u32_e64 v42, s[0:1], s3, v30
	v_addc_co_u32_e64 v43, s[0:1], v31, v28, s[0:1]
	global_load_dwordx4 v[28:31], v[42:43], off
	global_load_dwordx4 v[32:35], v[40:41], off offset:1280
	global_load_dwordx4 v[36:39], v[40:41], off offset:3072
	v_mov_b32_e32 v40, s2
	v_add_co_u32_e64 v44, s[0:1], s3, v42
	v_addc_co_u32_e64 v45, s[0:1], v43, v40, s[0:1]
	s_movk_i32 s0, 0x2000
	v_add_co_u32_e64 v56, s[0:1], s0, v100
	v_addc_co_u32_e64 v57, s[0:1], 0, v101, s[0:1]
	v_mov_b32_e32 v46, s2
	v_add_co_u32_e64 v58, s[0:1], s3, v44
	v_addc_co_u32_e64 v59, s[0:1], v45, v46, s[0:1]
	v_mad_u64_u32 v[60:61], s[0:1], s8, v67, 0
	global_load_dwordx4 v[40:43], v[44:45], off
	s_nop 0
	global_load_dwordx4 v[44:47], v[58:59], off
	global_load_dwordx4 v[48:51], v[56:57], off offset:768
	global_load_dwordx4 v[52:55], v[56:57], off offset:2560
	v_mov_b32_e32 v56, s2
	v_add_co_u32_e64 v64, s[0:1], s3, v58
	v_addc_co_u32_e64 v65, s[0:1], v59, v56, s[0:1]
	v_mad_u64_u32 v[61:62], s[0:1], s9, v67, v[61:62]
	v_add_co_u32_e64 v80, s[0:1], s10, v100
	v_lshlrev_b64 v[60:61], 4, v[60:61]
	v_addc_co_u32_e64 v81, s[0:1], 0, v101, s[0:1]
	v_add_co_u32_e64 v60, s[0:1], v63, v60
	v_addc_co_u32_e64 v61, s[0:1], v66, v61, s[0:1]
	v_mov_b32_e32 v66, 0xe00
	v_mad_u64_u32 v[82:83], s[0:1], s8, v66, v[64:65]
	s_mul_i32 s0, s9, 0xe00
	global_load_dwordx4 v[56:59], v[64:65], off
	v_lshlrev_b32_e32 v64, 4, v67
	v_add_u32_e32 v83, s0, v83
	global_load_dwordx4 v[60:63], v[60:61], off
	v_add_co_u32_e64 v84, s[0:1], s3, v82
	global_load_dwordx4 v[64:67], v64, s[14:15]
	s_nop 0
	global_load_dwordx4 v[68:71], v[82:83], off
	global_load_dwordx4 v[72:75], v[80:81], off offset:256
	global_load_dwordx4 v[76:79], v[80:81], off offset:3840
	v_mov_b32_e32 v80, s2
	v_addc_co_u32_e64 v85, s[0:1], v83, v80, s[0:1]
	s_movk_i32 s0, 0x4000
	v_add_co_u32_e64 v96, s[0:1], s0, v100
	v_addc_co_u32_e64 v97, s[0:1], 0, v101, s[0:1]
	v_mov_b32_e32 v86, s2
	v_add_co_u32_e64 v98, s[0:1], s3, v84
	v_addc_co_u32_e64 v99, s[0:1], v85, v86, s[0:1]
	global_load_dwordx4 v[80:83], v[84:85], off
	s_nop 0
	global_load_dwordx4 v[84:87], v[98:99], off
	global_load_dwordx4 v[88:91], v[96:97], off offset:1536
	global_load_dwordx4 v[92:95], v[96:97], off offset:3328
	v_mov_b32_e32 v97, s2
	v_add_co_u32_e64 v96, s[0:1], s3, v98
	v_addc_co_u32_e64 v97, s[0:1], v99, v97, s[0:1]
	s_movk_i32 s0, 0x5000
	v_add_co_u32_e64 v100, s[0:1], s0, v100
	v_addc_co_u32_e64 v101, s[0:1], 0, v101, s[0:1]
	global_load_dwordx4 v[96:99], v[96:97], off
	s_waitcnt vmcnt(22)
	v_mul_f64 v[104:105], v[2:3], v[10:11]
	global_load_dwordx4 v[100:103], v[100:101], off offset:1024
	v_mul_f64 v[10:11], v[0:1], v[10:11]
	s_waitcnt vmcnt(16)
	v_mul_f64 v[106:107], v[30:31], v[38:39]
	v_mul_f64 v[38:39], v[28:29], v[38:39]
	v_fma_f64 v[0:1], v[0:1], v[8:9], v[104:105]
	v_mul_f64 v[104:105], v[26:27], v[34:35]
	v_fma_f64 v[2:3], v[2:3], v[8:9], -v[10:11]
	v_mul_f64 v[8:9], v[6:7], v[14:15]
	v_mul_f64 v[10:11], v[4:5], v[14:15]
	;; [unrolled: 1-line block ×5, first 2 shown]
	v_fma_f64 v[4:5], v[4:5], v[12:13], v[8:9]
	v_fma_f64 v[6:7], v[6:7], v[12:13], -v[10:11]
	v_fma_f64 v[8:9], v[20:21], v[16:17], v[14:15]
	v_fma_f64 v[10:11], v[22:23], v[16:17], -v[18:19]
	;; [unrolled: 2-line block ×4, first 2 shown]
	ds_write_b128 v255, v[0:3]
	ds_write_b128 v255, v[4:7] offset:1792
	ds_write_b128 v255, v[8:11] offset:3584
	ds_write_b128 v255, v[12:15] offset:5376
	ds_write_b128 v255, v[16:19] offset:7168
	s_waitcnt vmcnt(13)
	v_mul_f64 v[0:1], v[42:43], v[50:51]
	v_mul_f64 v[2:3], v[40:41], v[50:51]
	s_waitcnt vmcnt(12)
	v_mul_f64 v[4:5], v[46:47], v[54:55]
	v_mul_f64 v[6:7], v[44:45], v[54:55]
	v_fma_f64 v[0:1], v[40:41], v[48:49], v[0:1]
	v_fma_f64 v[2:3], v[42:43], v[48:49], -v[2:3]
	v_fma_f64 v[4:5], v[44:45], v[52:53], v[4:5]
	v_fma_f64 v[6:7], v[46:47], v[52:53], -v[6:7]
	s_waitcnt vmcnt(7)
	v_mul_f64 v[8:9], v[58:59], v[74:75]
	v_mul_f64 v[10:11], v[56:57], v[74:75]
	;; [unrolled: 1-line block ×4, first 2 shown]
	s_waitcnt vmcnt(6)
	v_mul_f64 v[16:17], v[70:71], v[78:79]
	v_mul_f64 v[18:19], v[68:69], v[78:79]
	v_fma_f64 v[8:9], v[56:57], v[72:73], v[8:9]
	v_fma_f64 v[10:11], v[58:59], v[72:73], -v[10:11]
	v_fma_f64 v[12:13], v[60:61], v[64:65], v[12:13]
	v_fma_f64 v[14:15], v[62:63], v[64:65], -v[14:15]
	;; [unrolled: 2-line block ×3, first 2 shown]
	s_waitcnt vmcnt(3)
	v_mul_f64 v[20:21], v[82:83], v[90:91]
	v_mul_f64 v[22:23], v[80:81], v[90:91]
	s_waitcnt vmcnt(2)
	v_mul_f64 v[24:25], v[86:87], v[94:95]
	v_mul_f64 v[26:27], v[84:85], v[94:95]
	v_fma_f64 v[20:21], v[80:81], v[88:89], v[20:21]
	v_fma_f64 v[22:23], v[82:83], v[88:89], -v[22:23]
	v_fma_f64 v[24:25], v[84:85], v[92:93], v[24:25]
	v_fma_f64 v[26:27], v[86:87], v[92:93], -v[26:27]
	s_waitcnt vmcnt(0)
	v_mul_f64 v[28:29], v[98:99], v[102:103]
	v_mul_f64 v[30:31], v[96:97], v[102:103]
	v_fma_f64 v[28:29], v[96:97], v[100:101], v[28:29]
	v_fma_f64 v[30:31], v[98:99], v[100:101], -v[30:31]
	ds_write_b128 v255, v[0:3] offset:8960
	ds_write_b128 v255, v[4:7] offset:10752
	;; [unrolled: 1-line block ×8, first 2 shown]
.LBB0_3:
	s_or_b64 exec, exec, s[6:7]
	s_load_dwordx2 s[0:1], s[4:5], 0x20
	s_load_dwordx2 s[8:9], s[4:5], 0x8
	s_waitcnt vmcnt(0) lgkmcnt(0)
	s_barrier
	s_waitcnt lgkmcnt(0)
                                        ; implicit-def: $vgpr0_vgpr1
                                        ; implicit-def: $vgpr4_vgpr5
                                        ; implicit-def: $vgpr8_vgpr9
                                        ; implicit-def: $vgpr16_vgpr17
                                        ; implicit-def: $vgpr24_vgpr25
                                        ; implicit-def: $vgpr36_vgpr37
                                        ; implicit-def: $vgpr40_vgpr41
                                        ; implicit-def: $vgpr44_vgpr45
                                        ; implicit-def: $vgpr48_vgpr49
                                        ; implicit-def: $vgpr32_vgpr33
                                        ; implicit-def: $vgpr28_vgpr29
                                        ; implicit-def: $vgpr20_vgpr21
                                        ; implicit-def: $vgpr12_vgpr13
	s_and_saveexec_b64 s[2:3], vcc
	s_cbranch_execz .LBB0_5
; %bb.4:
	ds_read_b128 v[0:3], v255
	ds_read_b128 v[12:15], v255 offset:1792
	ds_read_b128 v[20:23], v255 offset:3584
	;; [unrolled: 1-line block ×12, first 2 shown]
.LBB0_5:
	s_or_b64 exec, exec, s[2:3]
	s_waitcnt lgkmcnt(0)
	v_add_f64 v[52:53], v[14:15], -v[50:51]
	s_mov_b32 s24, 0x4267c47c
	s_mov_b32 s25, 0xbfddbe06
	v_add_f64 v[158:159], v[12:13], -v[48:49]
	v_add_f64 v[116:117], v[48:49], v[12:13]
	s_mov_b32 s4, 0xe00740e9
	s_mov_b32 s5, 0x3fec55a7
	v_add_f64 v[120:121], v[50:51], v[14:15]
	v_mul_f64 v[57:58], v[52:53], s[24:25]
	v_add_f64 v[54:55], v[22:23], -v[46:47]
	v_add_f64 v[174:175], v[20:21], -v[44:45]
	v_mul_f64 v[249:250], v[158:159], s[24:25]
	s_mov_b32 s20, 0x42a4c3d2
	s_mov_b32 s21, 0xbfea55e2
	v_add_f64 v[126:127], v[44:45], v[20:21]
	v_add_f64 v[124:125], v[46:47], v[22:23]
	v_fma_f64 v[62:63], v[116:117], s[4:5], v[57:58]
	v_mul_f64 v[60:61], v[54:55], s[20:21]
	v_add_f64 v[180:181], v[6:7], -v[42:43]
	v_fma_f64 v[64:65], v[120:121], s[4:5], -v[249:250]
	v_add_f64 v[176:177], v[4:5], -v[40:41]
	s_mov_b32 s2, 0x1ea71119
	s_mov_b32 s26, 0x66966769
	;; [unrolled: 1-line block ×3, first 2 shown]
	v_add_f64 v[68:69], v[0:1], v[62:63]
	v_mul_f64 v[62:63], v[174:175], s[20:21]
	s_mov_b32 s27, 0xbfefc445
	v_add_f64 v[70:71], v[2:3], v[64:65]
	v_fma_f64 v[72:73], v[126:127], s[2:3], v[60:61]
	v_add_f64 v[128:129], v[4:5], v[40:41]
	v_add_f64 v[134:135], v[6:7], v[42:43]
	v_mul_f64 v[64:65], v[180:181], s[26:27]
	v_mul_f64 v[66:67], v[176:177], s[26:27]
	v_fma_f64 v[74:75], v[124:125], s[2:3], -v[62:63]
	v_add_f64 v[184:185], v[10:11], -v[38:39]
	v_add_f64 v[178:179], v[8:9], -v[36:37]
	s_mov_b32 s6, 0xebaa3ed8
	s_mov_b32 s28, 0x2ef20147
	;; [unrolled: 1-line block ×4, first 2 shown]
	v_add_f64 v[72:73], v[72:73], v[68:69]
	v_add_f64 v[74:75], v[74:75], v[70:71]
	v_fma_f64 v[76:77], v[128:129], s[6:7], v[64:65]
	v_add_f64 v[132:133], v[8:9], v[36:37]
	v_mul_f64 v[68:69], v[184:185], s[28:29]
	v_fma_f64 v[78:79], v[134:135], s[6:7], -v[66:67]
	v_add_f64 v[198:199], v[30:31], -v[26:27]
	v_add_f64 v[156:157], v[10:11], v[38:39]
	v_mul_f64 v[70:71], v[178:179], s[28:29]
	v_add_f64 v[182:183], v[28:29], -v[24:25]
	s_mov_b32 s10, 0xb2365da1
	s_mov_b32 s30, 0x24c2f84
	;; [unrolled: 1-line block ×4, first 2 shown]
	v_add_f64 v[72:73], v[76:77], v[72:73]
	v_fma_f64 v[76:77], v[132:133], s[10:11], v[68:69]
	v_add_f64 v[148:149], v[24:25], v[28:29]
	v_mul_f64 v[92:93], v[198:199], s[30:31]
	v_add_f64 v[74:75], v[78:79], v[74:75]
	v_fma_f64 v[78:79], v[156:157], s[10:11], -v[70:71]
	v_add_f64 v[152:153], v[26:27], v[30:31]
	v_mul_f64 v[94:95], v[182:183], s[30:31]
	s_mov_b32 s16, 0xd0032e0c
	s_mov_b32 s17, 0xbfe7f3cc
	v_add_f64 v[72:73], v[76:77], v[72:73]
	v_fma_f64 v[76:77], v[148:149], s[16:17], v[92:93]
	v_mul_f64 v[100:101], v[52:53], s[20:21]
	v_add_f64 v[74:75], v[78:79], v[74:75]
	v_mul_f64 v[140:141], v[158:159], s[20:21]
	v_fma_f64 v[78:79], v[152:153], s[16:17], -v[94:95]
	v_add_f64 v[215:216], v[34:35], -v[18:19]
	v_add_f64 v[211:212], v[32:33], -v[16:17]
	s_mov_b32 s34, 0x4bc48dbf
	s_mov_b32 s35, 0xbfcea1e5
	v_add_f64 v[72:73], v[76:77], v[72:73]
	v_fma_f64 v[76:77], v[116:117], s[2:3], v[100:101]
	v_mul_f64 v[102:103], v[54:55], s[28:29]
	v_add_f64 v[74:75], v[78:79], v[74:75]
	v_fma_f64 v[78:79], v[120:121], s[2:3], -v[140:141]
	v_mul_f64 v[108:109], v[174:175], s[28:29]
	v_add_f64 v[166:167], v[16:17], v[32:33]
	v_mul_f64 v[96:97], v[215:216], s[34:35]
	v_add_f64 v[168:169], v[18:19], v[34:35]
	v_mul_f64 v[98:99], v[211:212], s[34:35]
	s_mov_b32 s22, 0x93053d00
	s_mov_b32 s23, 0xbfef11f4
	v_add_f64 v[76:77], v[0:1], v[76:77]
	v_fma_f64 v[80:81], v[126:127], s[10:11], v[102:103]
	v_add_f64 v[78:79], v[2:3], v[78:79]
	v_fma_f64 v[82:83], v[124:125], s[10:11], -v[108:109]
	v_mul_f64 v[104:105], v[180:181], s[34:35]
	v_mul_f64 v[112:113], v[176:177], s[34:35]
	v_fma_f64 v[84:85], v[166:167], s[22:23], v[96:97]
	v_fma_f64 v[86:87], v[168:169], s[22:23], -v[98:99]
	v_mul_f64 v[130:131], v[52:53], s[26:27]
	v_mul_f64 v[172:173], v[158:159], s[26:27]
	s_mov_b32 s39, 0x3fe5384d
	s_mov_b32 s38, s30
	v_add_f64 v[76:77], v[80:81], v[76:77]
	v_add_f64 v[78:79], v[82:83], v[78:79]
	v_fma_f64 v[80:81], v[128:129], s[22:23], v[104:105]
	v_fma_f64 v[82:83], v[134:135], s[22:23], -v[112:113]
	v_mul_f64 v[106:107], v[184:185], s[38:39]
	v_mul_f64 v[114:115], v[178:179], s[38:39]
	v_add_f64 v[72:73], v[84:85], v[72:73]
	v_add_f64 v[74:75], v[86:87], v[74:75]
	v_fma_f64 v[84:85], v[116:117], s[6:7], v[130:131]
	v_mul_f64 v[138:139], v[54:55], s[34:35]
	v_fma_f64 v[86:87], v[120:121], s[6:7], -v[172:173]
	v_mul_f64 v[170:171], v[174:175], s[34:35]
	s_mov_b32 s37, 0x3fefc445
	s_mov_b32 s36, s26
	;; [unrolled: 1-line block ×4, first 2 shown]
	v_add_f64 v[76:77], v[80:81], v[76:77]
	v_add_f64 v[78:79], v[82:83], v[78:79]
	v_fma_f64 v[80:81], v[132:133], s[16:17], v[106:107]
	v_fma_f64 v[82:83], v[156:157], s[16:17], -v[114:115]
	v_mul_f64 v[110:111], v[198:199], s[36:37]
	v_mul_f64 v[122:123], v[182:183], s[36:37]
	v_add_f64 v[84:85], v[0:1], v[84:85]
	v_fma_f64 v[88:89], v[126:127], s[22:23], v[138:139]
	v_add_f64 v[86:87], v[2:3], v[86:87]
	v_fma_f64 v[90:91], v[124:125], s[22:23], -v[170:171]
	v_mul_f64 v[142:143], v[180:181], s[42:43]
	v_mul_f64 v[150:151], v[176:177], s[42:43]
	s_mov_b32 s41, 0x3fddbe06
	s_mov_b32 s40, s24
	v_add_f64 v[76:77], v[80:81], v[76:77]
	v_add_f64 v[78:79], v[82:83], v[78:79]
	v_fma_f64 v[80:81], v[148:149], s[6:7], v[110:111]
	v_fma_f64 v[82:83], v[152:153], s[6:7], -v[122:123]
	v_mul_f64 v[118:119], v[215:216], s[40:41]
	v_mul_f64 v[136:137], v[211:212], s[40:41]
	v_add_f64 v[84:85], v[88:89], v[84:85]
	v_add_f64 v[86:87], v[90:91], v[86:87]
	v_fma_f64 v[88:89], v[128:129], s[10:11], v[142:143]
	v_mul_f64 v[144:145], v[184:185], s[40:41]
	v_fma_f64 v[90:91], v[134:135], s[10:11], -v[150:151]
	v_mul_f64 v[154:155], v[178:179], s[40:41]
	s_barrier
	buffer_load_dword v56, off, s[52:55], 0 ; 4-byte Folded Reload
	v_add_f64 v[76:77], v[80:81], v[76:77]
	v_add_f64 v[78:79], v[82:83], v[78:79]
	v_fma_f64 v[80:81], v[166:167], s[4:5], v[118:119]
	v_fma_f64 v[82:83], v[168:169], s[4:5], -v[136:137]
	v_add_f64 v[84:85], v[88:89], v[84:85]
	v_fma_f64 v[88:89], v[132:133], s[4:5], v[144:145]
	v_add_f64 v[86:87], v[90:91], v[86:87]
	v_fma_f64 v[90:91], v[156:157], s[4:5], -v[154:155]
	v_mul_f64 v[146:147], v[198:199], s[20:21]
	v_mul_f64 v[160:161], v[182:183], s[20:21]
	;; [unrolled: 1-line block ×4, first 2 shown]
	v_add_f64 v[76:77], v[80:81], v[76:77]
	v_add_f64 v[78:79], v[82:83], v[78:79]
	v_add_f64 v[80:81], v[88:89], v[84:85]
	v_add_f64 v[82:83], v[90:91], v[86:87]
	v_fma_f64 v[84:85], v[148:149], s[2:3], v[146:147]
	v_fma_f64 v[86:87], v[152:153], s[2:3], -v[160:161]
	v_mul_f64 v[162:163], v[215:216], s[30:31]
	v_mul_f64 v[164:165], v[211:212], s[30:31]
	v_fma_f64 v[88:89], v[116:117], s[10:11], v[190:191]
	v_mul_f64 v[186:187], v[54:55], s[38:39]
	v_fma_f64 v[90:91], v[120:121], s[10:11], -v[205:206]
	v_mul_f64 v[203:204], v[174:175], s[38:39]
	v_add_f64 v[80:81], v[84:85], v[80:81]
	v_add_f64 v[82:83], v[86:87], v[82:83]
	v_fma_f64 v[84:85], v[166:167], s[16:17], v[162:163]
	v_fma_f64 v[86:87], v[168:169], s[16:17], -v[164:165]
	v_add_f64 v[88:89], v[0:1], v[88:89]
	v_fma_f64 v[192:193], v[126:127], s[16:17], v[186:187]
	v_add_f64 v[90:91], v[2:3], v[90:91]
	v_fma_f64 v[194:195], v[124:125], s[16:17], -v[203:204]
	v_mul_f64 v[223:224], v[52:53], s[30:31]
	v_mul_f64 v[239:240], v[158:159], s[30:31]
	v_add_f64 v[80:81], v[84:85], v[80:81]
	v_add_f64 v[82:83], v[86:87], v[82:83]
	v_mul_f64 v[225:226], v[54:55], s[36:37]
	v_add_f64 v[84:85], v[192:193], v[88:89]
	v_mul_f64 v[237:238], v[174:175], s[36:37]
	v_add_f64 v[86:87], v[194:195], v[90:91]
	v_fma_f64 v[192:193], v[116:117], s[16:17], v[223:224]
	v_fma_f64 v[194:195], v[120:121], s[16:17], -v[239:240]
	v_mul_f64 v[188:189], v[180:181], s[40:41]
	v_mul_f64 v[201:202], v[176:177], s[40:41]
	v_fma_f64 v[217:218], v[126:127], s[6:7], v[225:226]
	v_mul_f64 v[221:222], v[180:181], s[20:21]
	v_fma_f64 v[219:220], v[124:125], s[6:7], -v[237:238]
	v_mul_f64 v[235:236], v[176:177], s[20:21]
	v_add_f64 v[209:210], v[0:1], v[192:193]
	v_add_f64 v[194:195], v[2:3], v[194:195]
	s_mov_b32 s47, 0x3fcea1e5
	s_mov_b32 s46, s34
	v_fma_f64 v[88:89], v[128:129], s[4:5], v[188:189]
	v_fma_f64 v[90:91], v[134:135], s[4:5], -v[201:202]
	v_mul_f64 v[196:197], v[184:185], s[26:27]
	v_mul_f64 v[213:214], v[178:179], s[26:27]
	v_add_f64 v[209:210], v[217:218], v[209:210]
	v_add_f64 v[194:195], v[219:220], v[194:195]
	v_fma_f64 v[217:218], v[128:129], s[2:3], v[221:222]
	v_fma_f64 v[227:228], v[134:135], s[2:3], -v[235:236]
	v_mul_f64 v[219:220], v[184:185], s[46:47]
	v_mul_f64 v[233:234], v[178:179], s[46:47]
	v_add_f64 v[84:85], v[88:89], v[84:85]
	v_add_f64 v[86:87], v[90:91], v[86:87]
	;; [unrolled: 6-line block ×3, first 2 shown]
	v_fma_f64 v[241:242], v[132:133], s[22:23], v[219:220]
	v_fma_f64 v[243:244], v[156:157], s[22:23], -v[233:234]
	v_mul_f64 v[217:218], v[198:199], s[40:41]
	v_mul_f64 v[231:232], v[182:183], s[40:41]
	s_mov_b32 s45, 0x3fea55e2
	s_mov_b32 s44, s20
	v_add_f64 v[84:85], v[88:89], v[84:85]
	v_add_f64 v[86:87], v[90:91], v[86:87]
	v_fma_f64 v[88:89], v[148:149], s[22:23], v[192:193]
	v_fma_f64 v[90:91], v[152:153], s[22:23], -v[207:208]
	v_mul_f64 v[194:195], v[215:216], s[44:45]
	v_mul_f64 v[209:210], v[211:212], s[44:45]
	v_add_f64 v[241:242], v[241:242], v[229:230]
	v_add_f64 v[243:244], v[243:244], v[227:228]
	v_fma_f64 v[245:246], v[148:149], s[4:5], v[217:218]
	v_fma_f64 v[247:248], v[152:153], s[4:5], -v[231:232]
	v_mul_f64 v[227:228], v[215:216], s[28:29]
	v_mul_f64 v[229:230], v[211:212], s[28:29]
	v_add_f64 v[84:85], v[88:89], v[84:85]
	v_add_f64 v[86:87], v[90:91], v[86:87]
	v_fma_f64 v[88:89], v[166:167], s[2:3], v[194:195]
	v_fma_f64 v[90:91], v[168:169], s[2:3], -v[209:210]
	v_add_f64 v[241:242], v[245:246], v[241:242]
	v_add_f64 v[243:244], v[247:248], v[243:244]
	v_fma_f64 v[245:246], v[166:167], s[10:11], v[227:228]
	v_fma_f64 v[247:248], v[168:169], s[10:11], -v[229:230]
	s_waitcnt vmcnt(0)
	v_mul_lo_u16_e32 v56, 13, v56
	buffer_store_dword v56, off, s[52:55], 0 offset:28 ; 4-byte Folded Spill
	v_add_f64 v[88:89], v[88:89], v[84:85]
	v_add_f64 v[90:91], v[90:91], v[86:87]
	;; [unrolled: 1-line block ×4, first 2 shown]
	s_and_saveexec_b64 s[18:19], vcc
	s_cbranch_execz .LBB0_7
; %bb.6:
	v_mul_f64 v[241:242], v[120:121], s[22:23]
	v_mul_f64 v[243:244], v[124:125], s[4:5]
	;; [unrolled: 1-line block ×3, first 2 shown]
	buffer_store_dword v249, off, s[52:55], 0 offset:12 ; 4-byte Folded Spill
	s_nop 0
	buffer_store_dword v250, off, s[52:55], 0 offset:16 ; 4-byte Folded Spill
	v_mul_f64 v[249:250], v[54:55], s[40:41]
	v_mul_f64 v[180:181], v[180:181], s[30:31]
	;; [unrolled: 1-line block ×3, first 2 shown]
	buffer_store_dword v57, off, s[52:55], 0 offset:32 ; 4-byte Folded Spill
	s_nop 0
	buffer_store_dword v58, off, s[52:55], 0 offset:36 ; 4-byte Folded Spill
	v_fma_f64 v[245:246], v[158:159], s[46:47], v[241:242]
	v_fma_f64 v[52:53], v[174:175], s[24:25], v[243:244]
	;; [unrolled: 1-line block ×3, first 2 shown]
	v_mul_f64 v[58:59], v[168:169], s[6:7]
	v_mul_f64 v[215:216], v[215:216], s[36:37]
	v_fma_f64 v[158:159], v[158:159], s[34:35], v[241:242]
	v_fma_f64 v[174:175], v[174:175], s[40:41], v[243:244]
	v_mul_f64 v[241:242], v[116:117], s[4:5]
	v_add_f64 v[245:246], v[2:3], v[245:246]
	v_mul_f64 v[243:244], v[120:121], s[4:5]
	v_add_f64 v[54:55], v[0:1], v[54:55]
	v_add_f64 v[14:15], v[2:3], v[14:15]
	;; [unrolled: 1-line block ×5, first 2 shown]
	v_fma_f64 v[245:246], v[126:127], s[4:5], v[249:250]
	v_add_f64 v[14:15], v[22:23], v[14:15]
	v_add_f64 v[12:13], v[20:21], v[12:13]
	;; [unrolled: 1-line block ×3, first 2 shown]
	v_mul_f64 v[174:175], v[120:121], s[16:17]
	v_add_f64 v[54:55], v[245:246], v[54:55]
	v_mul_f64 v[245:246], v[134:135], s[16:17]
	v_add_f64 v[6:7], v[6:7], v[14:15]
	v_add_f64 v[4:5], v[4:5], v[12:13]
	;; [unrolled: 1-line block ×3, first 2 shown]
	v_mul_f64 v[239:240], v[124:125], s[6:7]
	v_fma_f64 v[251:252], v[176:177], s[38:39], v[245:246]
	v_fma_f64 v[176:177], v[176:177], s[30:31], v[245:246]
	v_mul_f64 v[245:246], v[116:117], s[6:7]
	v_add_f64 v[4:5], v[8:9], v[4:5]
	v_add_f64 v[174:175], v[2:3], v[174:175]
	v_add_f64 v[237:238], v[237:238], v[239:240]
	v_mul_f64 v[239:240], v[120:121], s[6:7]
	v_add_f64 v[6:7], v[10:11], v[6:7]
	v_add_f64 v[52:53], v[251:252], v[52:53]
	v_fma_f64 v[251:252], v[128:129], s[16:17], v[180:181]
	v_add_f64 v[158:159], v[176:177], v[158:159]
	v_fma_f64 v[180:181], v[128:129], s[16:17], -v[180:181]
	v_mul_f64 v[176:177], v[116:117], s[2:3]
	v_add_f64 v[174:175], v[237:238], v[174:175]
	v_mul_f64 v[237:238], v[126:127], s[2:3]
	v_add_f64 v[172:173], v[172:173], v[239:240]
	v_add_f64 v[130:131], v[245:246], -v[130:131]
	v_add_f64 v[54:55], v[251:252], v[54:55]
	v_mul_f64 v[251:252], v[156:157], s[2:3]
	v_add_f64 v[4:5], v[28:29], v[4:5]
	v_add_f64 v[6:7], v[30:31], v[6:7]
	v_mul_f64 v[239:240], v[166:167], s[16:17]
	v_add_f64 v[60:61], v[237:238], -v[60:61]
	v_add_f64 v[130:131], v[0:1], v[130:131]
	v_fma_f64 v[253:254], v[178:179], s[20:21], v[251:252]
	v_fma_f64 v[178:179], v[178:179], s[44:45], v[251:252]
	v_add_f64 v[4:5], v[32:33], v[4:5]
	v_add_f64 v[6:7], v[34:35], v[6:7]
	v_add_f64 v[32:33], v[176:177], -v[100:101]
	v_add_f64 v[28:29], v[239:240], -v[162:163]
	v_add_f64 v[52:53], v[253:254], v[52:53]
	v_fma_f64 v[253:254], v[132:133], s[2:3], v[184:185]
	v_add_f64 v[158:159], v[178:179], v[158:159]
	v_mul_f64 v[178:179], v[134:135], s[2:3]
	v_fma_f64 v[184:185], v[132:133], s[2:3], -v[184:185]
	v_add_f64 v[4:5], v[16:17], v[4:5]
	v_add_f64 v[6:7], v[18:19], v[6:7]
	;; [unrolled: 1-line block ×3, first 2 shown]
	v_mul_f64 v[253:254], v[152:153], s[10:11]
	v_add_f64 v[178:179], v[235:236], v[178:179]
	v_mul_f64 v[235:236], v[156:157], s[22:23]
	v_add_f64 v[4:5], v[24:25], v[4:5]
	v_add_f64 v[6:7], v[26:27], v[6:7]
	v_fma_f64 v[56:57], v[182:183], s[42:43], v[253:254]
	v_fma_f64 v[182:183], v[182:183], s[28:29], v[253:254]
	v_add_f64 v[233:234], v[233:234], v[235:236]
	v_add_f64 v[174:175], v[178:179], v[174:175]
	v_mul_f64 v[178:179], v[126:127], s[6:7]
	v_mul_f64 v[235:236], v[126:127], s[10:11]
	v_add_f64 v[6:7], v[38:39], v[6:7]
	v_add_f64 v[4:5], v[36:37], v[4:5]
	;; [unrolled: 1-line block ×3, first 2 shown]
	v_mul_f64 v[56:57], v[198:199], s[28:29]
	v_add_f64 v[158:159], v[182:183], v[158:159]
	v_mul_f64 v[182:183], v[152:153], s[4:5]
	v_add_f64 v[174:175], v[233:234], v[174:175]
	v_add_f64 v[178:179], v[178:179], -v[225:226]
	v_mul_f64 v[225:226], v[128:129], s[2:3]
	v_mul_f64 v[233:234], v[124:125], s[22:23]
	v_add_f64 v[34:35], v[235:236], -v[102:103]
	v_fma_f64 v[198:199], v[148:149], s[10:11], v[56:57]
	v_fma_f64 v[56:57], v[148:149], s[10:11], -v[56:57]
	v_add_f64 v[182:183], v[231:232], v[182:183]
	v_mul_f64 v[231:232], v[168:169], s[10:11]
	v_add_f64 v[6:7], v[42:43], v[6:7]
	v_add_f64 v[221:222], v[225:226], -v[221:222]
	v_mul_f64 v[225:226], v[128:129], s[6:7]
	v_add_f64 v[4:5], v[40:41], v[4:5]
	v_add_f64 v[198:199], v[198:199], v[54:55]
	v_fma_f64 v[54:55], v[211:212], s[26:27], v[58:59]
	v_fma_f64 v[58:59], v[211:212], s[36:37], v[58:59]
	v_fma_f64 v[211:212], v[126:127], s[4:5], -v[249:250]
	v_add_f64 v[229:230], v[229:230], v[231:232]
	v_mul_f64 v[231:232], v[166:167], s[10:11]
	v_add_f64 v[174:175], v[182:183], v[174:175]
	v_mul_f64 v[182:183], v[132:133], s[22:23]
	v_mul_f64 v[249:250], v[168:169], s[4:5]
	v_add_f64 v[54:55], v[54:55], v[52:53]
	v_fma_f64 v[52:53], v[166:167], s[6:7], v[215:216]
	v_fma_f64 v[215:216], v[166:167], s[6:7], -v[215:216]
	v_add_f64 v[36:37], v[46:47], v[6:7]
	v_add_f64 v[227:228], v[231:232], -v[227:228]
	v_mul_f64 v[231:232], v[148:149], s[4:5]
	v_add_f64 v[182:183], v[182:183], -v[219:220]
	v_mul_f64 v[219:220], v[134:135], s[22:23]
	v_add_f64 v[4:5], v[44:45], v[4:5]
	v_add_f64 v[52:53], v[52:53], v[198:199]
	v_fma_f64 v[198:199], v[116:117], s[22:23], -v[247:248]
	v_mul_f64 v[247:248], v[156:157], s[10:11]
	v_add_f64 v[217:218], v[231:232], -v[217:218]
	v_mul_f64 v[231:232], v[156:157], s[6:7]
	v_add_f64 v[112:113], v[112:113], v[219:220]
	v_add_f64 v[198:199], v[0:1], v[198:199]
	;; [unrolled: 1-line block ×4, first 2 shown]
	v_mul_f64 v[211:212], v[120:121], s[2:3]
	v_mul_f64 v[120:121], v[120:121], s[10:11]
	v_add_f64 v[180:181], v[180:181], v[198:199]
	v_mul_f64 v[198:199], v[116:117], s[10:11]
	v_mul_f64 v[116:117], v[116:117], s[16:17]
	v_add_f64 v[120:121], v[205:206], v[120:121]
	v_mul_f64 v[205:206], v[128:129], s[22:23]
	v_add_f64 v[140:141], v[140:141], v[211:212]
	v_add_f64 v[180:181], v[184:185], v[180:181]
	v_mul_f64 v[184:185], v[124:125], s[2:3]
	v_add_f64 v[116:117], v[116:117], -v[223:224]
	v_add_f64 v[120:121], v[2:3], v[120:121]
	v_mul_f64 v[223:224], v[126:127], s[22:23]
	v_mul_f64 v[126:127], v[126:127], s[16:17]
	v_add_f64 v[190:191], v[198:199], -v[190:191]
	v_mul_f64 v[198:199], v[132:133], s[4:5]
	v_add_f64 v[56:57], v[56:57], v[180:181]
	v_mul_f64 v[180:181], v[124:125], s[10:11]
	v_add_f64 v[116:117], v[0:1], v[116:117]
	;; [unrolled: 2-line block ×3, first 2 shown]
	v_add_f64 v[22:23], v[223:224], -v[138:139]
	v_add_f64 v[62:63], v[62:63], v[184:185]
	v_add_f64 v[18:19], v[205:206], -v[104:105]
	v_add_f64 v[10:11], v[198:199], -v[144:145]
	v_add_f64 v[108:109], v[108:109], v[180:181]
	v_add_f64 v[116:117], v[178:179], v[116:117]
	;; [unrolled: 1-line block ×3, first 2 shown]
	v_mul_f64 v[203:204], v[128:129], s[10:11]
	v_mul_f64 v[128:129], v[128:129], s[4:5]
	;; [unrolled: 1-line block ×3, first 2 shown]
	v_add_f64 v[22:23], v[22:23], v[130:131]
	v_add_f64 v[108:109], v[108:109], v[140:141]
	;; [unrolled: 1-line block ×3, first 2 shown]
	v_mul_f64 v[221:222], v[134:135], s[4:5]
	v_add_f64 v[120:121], v[124:125], v[120:121]
	v_add_f64 v[124:125], v[213:214], v[231:232]
	v_mul_f64 v[231:232], v[148:149], s[16:17]
	v_mul_f64 v[134:135], v[134:135], s[10:11]
	v_mul_f64 v[213:214], v[156:157], s[16:17]
	v_mul_f64 v[156:157], v[156:157], s[4:5]
	v_add_f64 v[116:117], v[182:183], v[116:117]
	v_add_f64 v[200:201], v[201:202], v[221:222]
	v_mul_f64 v[221:222], v[132:133], s[10:11]
	v_mul_f64 v[182:183], v[132:133], s[16:17]
	;; [unrolled: 1-line block ×3, first 2 shown]
	v_add_f64 v[14:15], v[203:204], -v[142:143]
	v_add_f64 v[114:115], v[114:115], v[213:214]
	v_add_f64 v[20:21], v[154:155], v[156:157]
	;; [unrolled: 1-line block ×4, first 2 shown]
	v_add_f64 v[116:117], v[126:127], -v[186:187]
	v_add_f64 v[126:127], v[0:1], v[190:191]
	v_mul_f64 v[200:201], v[152:153], s[22:23]
	v_add_f64 v[132:133], v[132:133], -v[196:197]
	v_mul_f64 v[186:187], v[152:153], s[16:17]
	v_add_f64 v[108:109], v[112:113], v[108:109]
	v_add_f64 v[14:15], v[14:15], v[22:23]
	;; [unrolled: 1-line block ×3, first 2 shown]
	v_add_f64 v[124:125], v[128:129], -v[188:189]
	v_add_f64 v[116:117], v[116:117], v[126:127]
	v_add_f64 v[190:191], v[207:208], v[200:201]
	v_mul_f64 v[207:208], v[148:149], s[6:7]
	v_mul_f64 v[126:127], v[148:149], s[2:3]
	;; [unrolled: 1-line block ×5, first 2 shown]
	v_add_f64 v[22:23], v[114:115], v[108:109]
	v_add_f64 v[124:125], v[124:125], v[116:117]
	;; [unrolled: 1-line block ×4, first 2 shown]
	buffer_load_dword v108, off, s[52:55], 0 offset:12 ; 4-byte Folded Reload
	buffer_load_dword v109, off, s[52:55], 0 offset:16 ; 4-byte Folded Reload
	v_add_f64 v[58:59], v[148:149], -v[192:193]
	v_add_f64 v[148:149], v[170:171], v[233:234]
	v_add_f64 v[12:13], v[160:161], v[152:153]
	v_mul_f64 v[200:201], v[168:169], s[2:3]
	v_add_f64 v[132:133], v[132:133], v[124:125]
	v_add_f64 v[24:25], v[182:183], -v[106:107]
	v_mul_f64 v[196:197], v[166:167], s[4:5]
	v_add_f64 v[30:31], v[126:127], -v[146:147]
	v_add_f64 v[10:11], v[10:11], v[14:15]
	v_add_f64 v[14:15], v[136:137], v[249:250]
	v_add_f64 v[190:191], v[190:191], v[120:121]
	v_add_f64 v[188:189], v[209:210], v[200:201]
	v_add_f64 v[58:59], v[58:59], v[132:133]
	v_add_f64 v[132:133], v[150:151], v[134:135]
	v_add_f64 v[134:135], v[148:149], v[158:159]
	v_mul_f64 v[200:201], v[166:167], s[22:23]
	v_mul_f64 v[209:210], v[168:169], s[22:23]
	;; [unrolled: 1-line block ×4, first 2 shown]
	v_add_f64 v[124:125], v[188:189], v[190:191]
	v_add_f64 v[120:121], v[229:230], v[174:175]
	;; [unrolled: 1-line block ×5, first 2 shown]
	v_add_f64 v[166:167], v[166:167], -v[194:195]
	v_add_f64 v[20:21], v[20:21], v[132:133]
	v_add_f64 v[12:13], v[12:13], v[20:21]
	;; [unrolled: 1-line block ×5, first 2 shown]
	buffer_load_dword v22, off, s[52:55], 0 offset:32 ; 4-byte Folded Reload
	buffer_load_dword v23, off, s[52:55], 0 offset:36 ; 4-byte Folded Reload
	v_add_f64 v[6:7], v[14:15], v[20:21]
	v_add_f64 v[14:15], v[50:51], v[36:37]
	s_waitcnt vmcnt(2)
	v_add_f64 v[108:109], v[108:109], v[243:244]
	v_add_f64 v[2:3], v[2:3], v[108:109]
	;; [unrolled: 1-line block ×3, first 2 shown]
	s_waitcnt vmcnt(0)
	v_add_f64 v[22:23], v[241:242], -v[22:23]
	v_add_f64 v[16:17], v[0:1], v[22:23]
	v_add_f64 v[0:1], v[0:1], v[32:33]
	;; [unrolled: 1-line block ×3, first 2 shown]
	v_add_f64 v[32:33], v[225:226], -v[64:65]
	v_add_f64 v[16:17], v[60:61], v[16:17]
	v_add_f64 v[0:1], v[34:35], v[0:1]
	;; [unrolled: 1-line block ×3, first 2 shown]
	v_add_f64 v[22:23], v[221:222], -v[68:69]
	v_add_f64 v[34:35], v[200:201], -v[96:97]
	v_add_f64 v[16:17], v[32:33], v[16:17]
	v_add_f64 v[32:33], v[94:95], v[186:187]
	;; [unrolled: 1-line block ×3, first 2 shown]
	v_add_f64 v[26:27], v[231:232], -v[92:93]
	v_add_f64 v[0:1], v[18:19], v[0:1]
	v_add_f64 v[18:19], v[207:208], -v[110:111]
	v_add_f64 v[16:17], v[22:23], v[16:17]
	;; [unrolled: 2-line block ×3, first 2 shown]
	v_add_f64 v[2:3], v[8:9], v[12:13]
	v_add_f64 v[0:1], v[24:25], v[0:1]
	;; [unrolled: 1-line block ×10, first 2 shown]
	buffer_load_dword v16, off, s[52:55], 0 offset:28 ; 4-byte Folded Reload
	v_add_f64 v[4:5], v[22:23], v[0:1]
	v_add_f64 v[0:1], v[28:29], v[18:19]
	s_waitcnt vmcnt(0)
	v_lshlrev_b32_e32 v16, 4, v16
	ds_write_b128 v16, v[12:15]
	ds_write_b128 v16, v[8:11] offset:16
	ds_write_b128 v16, v[4:7] offset:32
	;; [unrolled: 1-line block ×12, first 2 shown]
.LBB0_7:
	s_or_b64 exec, exec, s[18:19]
	s_load_dwordx4 s[4:7], s[0:1], 0x0
	s_waitcnt vmcnt(0) lgkmcnt(0)
	s_barrier
	buffer_load_dword v128, off, s[52:55], 0 ; 4-byte Folded Reload
	s_movk_i32 s0, 0x4f
	v_mov_b32_e32 v6, s9
	s_waitcnt vmcnt(0)
	v_mul_lo_u16_sdwa v2, v128, s0 dst_sel:DWORD dst_unused:UNUSED_PAD src0_sel:BYTE_0 src1_sel:DWORD
	v_lshrrev_b16_e32 v23, 10, v2
	v_mul_lo_u16_e32 v0, 13, v23
	v_sub_u16_e32 v0, v128, v0
	v_and_b32_e32 v60, 0xff, v0
	v_add_u16_e32 v0, 0xb6, v128
	v_mul_u32_u24_e32 v1, 0x4ec5, v0
	v_lshrrev_b32_e32 v61, 18, v1
	v_mul_lo_u16_e32 v5, 13, v61
	v_sub_u16_e32 v62, v0, v5
	v_mad_u64_u32 v[3:4], s[0:1], v60, 48, s[8:9]
	v_mul_lo_u16_e32 v5, 48, v62
	v_add_co_u32_e64 v5, s[0:1], s8, v5
	v_addc_co_u32_e64 v6, s[0:1], 0, v6, s[0:1]
	global_load_dwordx4 v[28:31], v[5:6], off offset:16
	global_load_dwordx4 v[24:27], v[5:6], off offset:32
	global_load_dwordx4 v[44:47], v[3:4], off
	global_load_dwordx4 v[40:43], v[3:4], off offset:16
	global_load_dwordx4 v[32:35], v[3:4], off offset:32
	global_load_dwordx4 v[36:39], v[5:6], off
	ds_read_b128 v[3:6], v255
	ds_read_b128 v[7:10], v255 offset:2912
	ds_read_b128 v[11:14], v255 offset:5824
	;; [unrolled: 1-line block ×7, first 2 shown]
	v_mul_u32_u24_e32 v23, 52, v23
	v_mad_legacy_u16 v61, v61, 52, v62
	v_add_lshl_u32 v222, v23, v60, 4
	v_lshlrev_b32_e32 v221, 4, v61
	s_waitcnt vmcnt(0) lgkmcnt(0)
	s_barrier
	v_cmp_gt_u16_e64 s[0:1], 26, v128
	v_mul_f64 v[60:61], v[50:51], v[30:31]
	v_mul_f64 v[62:63], v[48:49], v[30:31]
	v_mul_f64 v[68:69], v[13:14], v[46:47]
	v_mul_f64 v[70:71], v[11:12], v[46:47]
	v_mul_f64 v[92:93], v[21:22], v[42:43]
	v_mul_f64 v[94:95], v[19:20], v[42:43]
	v_mul_f64 v[96:97], v[54:55], v[34:35]
	v_mul_f64 v[98:99], v[52:53], v[34:35]
	v_mul_f64 v[64:65], v[58:59], v[26:27]
	v_mul_f64 v[66:67], v[56:57], v[26:27]
	v_mul_f64 v[100:101], v[17:18], v[38:39]
	v_mul_f64 v[102:103], v[15:16], v[38:39]
	v_fma_f64 v[48:49], v[48:49], v[28:29], -v[60:61]
	v_fma_f64 v[50:51], v[50:51], v[28:29], v[62:63]
	v_fma_f64 v[11:12], v[11:12], v[44:45], -v[68:69]
	v_fma_f64 v[13:14], v[13:14], v[44:45], v[70:71]
	;; [unrolled: 2-line block ×6, first 2 shown]
	v_add_f64 v[48:49], v[7:8], -v[48:49]
	v_add_f64 v[60:61], v[9:10], -v[50:51]
	;; [unrolled: 1-line block ×8, first 2 shown]
	v_fma_f64 v[58:59], v[7:8], 2.0, -v[48:49]
	v_fma_f64 v[62:63], v[9:10], 2.0, -v[60:61]
	v_fma_f64 v[64:65], v[3:4], 2.0, -v[19:20]
	v_fma_f64 v[66:67], v[5:6], 2.0, -v[21:22]
	v_fma_f64 v[7:8], v[11:12], 2.0, -v[50:51]
	v_fma_f64 v[9:10], v[13:14], 2.0, -v[52:53]
	v_fma_f64 v[11:12], v[15:16], 2.0, -v[54:55]
	v_fma_f64 v[13:14], v[17:18], 2.0, -v[56:57]
	v_add_f64 v[3:4], v[19:20], -v[52:53]
	v_add_f64 v[5:6], v[21:22], v[50:51]
	v_add_f64 v[92:93], v[48:49], -v[56:57]
	v_add_f64 v[94:95], v[60:61], v[54:55]
	v_add_f64 v[7:8], v[64:65], -v[7:8]
	v_add_f64 v[9:10], v[66:67], -v[9:10]
	;; [unrolled: 1-line block ×4, first 2 shown]
	v_fma_f64 v[15:16], v[19:20], 2.0, -v[3:4]
	v_fma_f64 v[17:18], v[21:22], 2.0, -v[5:6]
	;; [unrolled: 1-line block ×8, first 2 shown]
	ds_write_b128 v222, v[3:6] offset:624
	ds_write_b128 v222, v[15:18] offset:208
	;; [unrolled: 1-line block ×3, first 2 shown]
	ds_write_b128 v222, v[48:51]
	ds_write_b128 v221, v[52:55]
	ds_write_b128 v221, v[19:22] offset:208
	ds_write_b128 v221, v[11:14] offset:416
	;; [unrolled: 1-line block ×3, first 2 shown]
	s_waitcnt lgkmcnt(0)
	s_barrier
	ds_read_b128 v[96:99], v255
	ds_read_b128 v[120:123], v255 offset:3328
	ds_read_b128 v[116:119], v255 offset:6656
	;; [unrolled: 1-line block ×6, first 2 shown]
                                        ; implicit-def: $vgpr100_vgpr101
	s_and_saveexec_b64 s[2:3], s[0:1]
	s_cbranch_execz .LBB0_9
; %bb.8:
	ds_read_b128 v[92:95], v255 offset:2912
	ds_read_b128 v[84:87], v255 offset:6240
	;; [unrolled: 1-line block ×7, first 2 shown]
.LBB0_9:
	s_or_b64 exec, exec, s[2:3]
	buffer_load_dword v3, off, s[52:55], 0  ; 4-byte Folded Reload
	v_lshrrev_b32_e32 v1, 20, v1
	v_mul_lo_u16_e32 v1, 52, v1
	v_lshrrev_b16_e32 v128, 12, v2
	v_sub_u16_e32 v0, v0, v1
	v_mul_lo_u16_e32 v2, 52, v128
	v_mul_lo_u16_e32 v1, 0x60, v0
	v_add_co_u32_e64 v48, s[2:3], s8, v1
	v_mov_b32_e32 v17, s9
	v_mov_b32_e32 v16, s8
	s_mov_b32 s10, 0x37e14327
	s_mov_b32 s18, 0xe976ee23
	;; [unrolled: 1-line block ×18, first 2 shown]
	v_lshlrev_b32_e32 v227, 4, v0
	s_waitcnt vmcnt(0)
	v_sub_u16_e32 v2, v3, v2
	v_mov_b32_e32 v3, s9
	v_addc_co_u32_e64 v49, s[2:3], 0, v3, s[2:3]
	global_load_dwordx4 v[209:212], v[48:49], off offset:640
	global_load_dwordx4 v[6:9], v[48:49], off offset:624
	v_and_b32_e32 v1, 0xff, v2
	global_load_dwordx4 v[2:5], v[48:49], off offset:672
	global_load_dwordx4 v[10:13], v[48:49], off offset:656
	s_movk_i32 s2, 0x60
	v_mad_u64_u32 v[60:61], s[2:3], v1, s2, v[16:17]
	global_load_dwordx4 v[18:21], v[48:49], off offset:688
	global_load_dwordx4 v[14:17], v[48:49], off offset:704
	;; [unrolled: 1-line block ×4, first 2 shown]
                                        ; kill: killed $vgpr48 killed $vgpr49
	global_load_dwordx4 v[52:55], v[60:61], off offset:656
	s_nop 0
	global_load_dwordx4 v[48:51], v[60:61], off offset:672
	global_load_dwordx4 v[56:59], v[60:61], off offset:688
	s_nop 0
	global_load_dwordx4 v[60:63], v[60:61], off offset:704
	s_mov_b32 s2, 0x36b3c0b5
	s_mov_b32 s3, 0x3fac98ee
	s_waitcnt vmcnt(7) lgkmcnt(1)
	v_mul_f64 v[145:146], v[74:75], v[20:21]
	s_waitcnt vmcnt(6) lgkmcnt(0)
	v_mul_f64 v[149:150], v[102:103], v[16:17]
	v_mul_f64 v[129:130], v[86:87], v[8:9]
	;; [unrolled: 1-line block ×9, first 2 shown]
	v_fma_f64 v[129:130], v[84:85], v[6:7], -v[129:130]
	buffer_store_dword v6, off, s[52:55], 0 offset:48 ; 4-byte Folded Spill
	s_nop 0
	buffer_store_dword v7, off, s[52:55], 0 offset:52 ; 4-byte Folded Spill
	buffer_store_dword v8, off, s[52:55], 0 offset:56 ; 4-byte Folded Spill
	buffer_store_dword v9, off, s[52:55], 0 offset:60 ; 4-byte Folded Spill
	v_fma_f64 v[137:138], v[80:81], v[10:11], -v[137:138]
	buffer_store_dword v10, off, s[52:55], 0 offset:64 ; 4-byte Folded Spill
	s_nop 0
	buffer_store_dword v11, off, s[52:55], 0 offset:68 ; 4-byte Folded Spill
	buffer_store_dword v12, off, s[52:55], 0 offset:72 ; 4-byte Folded Spill
	buffer_store_dword v13, off, s[52:55], 0 offset:76 ; 4-byte Folded Spill
	;; [unrolled: 6-line block ×5, first 2 shown]
	v_mul_f64 v[133:134], v[90:91], v[211:212]
	v_mul_f64 v[135:136], v[88:89], v[211:212]
	s_waitcnt vmcnt(25)
	v_mul_f64 v[153:154], v[122:123], v[70:71]
	v_mul_f64 v[155:156], v[120:121], v[70:71]
	s_waitcnt vmcnt(24)
	v_mul_f64 v[157:158], v[118:119], v[66:67]
	v_mul_f64 v[159:160], v[116:117], v[66:67]
	s_waitcnt vmcnt(23)
	v_mul_f64 v[161:162], v[110:111], v[54:55]
	v_mul_f64 v[163:164], v[108:109], v[54:55]
	s_waitcnt vmcnt(21)
	v_mul_f64 v[169:170], v[114:115], v[58:59]
	v_mul_f64 v[171:172], v[112:113], v[58:59]
	s_waitcnt vmcnt(20)
	v_mul_f64 v[173:174], v[126:127], v[62:63]
	v_mul_f64 v[175:176], v[124:125], v[62:63]
	;; [unrolled: 1-line block ×4, first 2 shown]
	v_fma_f64 v[133:134], v[88:89], v[209:210], -v[133:134]
	v_fma_f64 v[135:136], v[90:91], v[209:210], v[135:136]
	v_fma_f64 v[76:77], v[120:121], v[68:69], -v[153:154]
	v_fma_f64 v[80:81], v[116:117], v[64:65], -v[157:158]
	;; [unrolled: 1-line block ×4, first 2 shown]
	v_fma_f64 v[90:91], v[110:111], v[52:53], v[163:164]
	v_fma_f64 v[108:109], v[112:113], v[56:57], -v[169:170]
	v_fma_f64 v[110:111], v[114:115], v[56:57], v[171:172]
	v_fma_f64 v[104:105], v[104:105], v[48:49], -v[165:166]
	v_fma_f64 v[106:107], v[106:107], v[48:49], v[167:168]
	v_add_f64 v[112:113], v[76:77], v[84:85]
	v_add_f64 v[76:77], v[76:77], -v[84:85]
	v_add_f64 v[84:85], v[80:81], v[108:109]
	v_add_f64 v[80:81], v[80:81], -v[108:109]
	;; [unrolled: 2-line block ×4, first 2 shown]
	v_add_f64 v[112:113], v[112:113], -v[108:109]
	v_add_f64 v[84:85], v[108:109], -v[84:85]
	v_add_f64 v[120:121], v[88:89], v[80:81]
	v_add_f64 v[124:125], v[88:89], -v[80:81]
	v_add_f64 v[80:81], v[80:81], -v[76:77]
	;; [unrolled: 1-line block ×3, first 2 shown]
	v_add_f64 v[104:105], v[108:109], v[104:105]
	v_mul_f64 v[112:113], v[112:113], s[10:11]
	v_add_f64 v[108:109], v[120:121], v[76:77]
	v_mul_f64 v[120:121], v[84:85], s[2:3]
	v_mul_f64 v[124:125], v[124:125], s[18:19]
	v_add_f64 v[76:77], v[96:97], v[104:105]
	v_mul_f64 v[96:97], v[80:81], s[16:17]
	v_fma_f64 v[84:85], v[84:85], s[2:3], v[112:113]
	v_fma_f64 v[112:113], v[116:117], s[24:25], -v[112:113]
	v_fma_f64 v[120:121], v[116:117], s[22:23], -v[120:121]
	v_fma_f64 v[116:117], v[88:89], s[26:27], v[124:125]
	v_fma_f64 v[80:81], v[80:81], s[16:17], -v[124:125]
	v_fma_f64 v[104:105], v[104:105], s[20:21], v[76:77]
	;; [unrolled: 2-line block ×3, first 2 shown]
	v_fma_f64 v[86:87], v[126:127], v[60:61], v[175:176]
	v_fma_f64 v[139:140], v[82:83], v[10:11], v[139:140]
	;; [unrolled: 1-line block ×6, first 2 shown]
	v_add_f64 v[124:125], v[84:85], v[104:105]
	v_add_f64 v[96:97], v[120:121], v[104:105]
	v_add_f64 v[104:105], v[112:113], v[104:105]
	v_fma_f64 v[102:103], v[102:103], v[14:15], v[151:152]
	v_add_f64 v[114:115], v[78:79], v[86:87]
	v_add_f64 v[78:79], v[78:79], -v[86:87]
	v_add_f64 v[86:87], v[82:83], v[110:111]
	v_add_f64 v[82:83], v[82:83], -v[110:111]
	v_add_f64 v[110:111], v[90:91], v[106:107]
	v_add_f64 v[90:91], v[106:107], -v[90:91]
	v_add_f64 v[106:107], v[86:87], v[114:115]
	v_add_f64 v[118:119], v[86:87], -v[114:115]
	v_add_f64 v[114:115], v[114:115], -v[110:111]
	v_add_f64 v[86:87], v[110:111], -v[86:87]
	v_add_f64 v[122:123], v[90:91], v[82:83]
	v_add_f64 v[126:127], v[90:91], -v[82:83]
	v_add_f64 v[82:83], v[82:83], -v[78:79]
	;; [unrolled: 1-line block ×3, first 2 shown]
	v_add_f64 v[106:107], v[110:111], v[106:107]
	v_mul_f64 v[114:115], v[114:115], s[10:11]
	v_add_f64 v[110:111], v[122:123], v[78:79]
	v_mul_f64 v[122:123], v[86:87], s[2:3]
	v_mul_f64 v[126:127], v[126:127], s[18:19]
	v_add_f64 v[78:79], v[98:99], v[106:107]
	v_mul_f64 v[98:99], v[82:83], s[16:17]
	v_fma_f64 v[86:87], v[86:87], s[2:3], v[114:115]
	v_fma_f64 v[114:115], v[118:119], s[24:25], -v[114:115]
	v_fma_f64 v[122:123], v[118:119], s[22:23], -v[122:123]
	v_fma_f64 v[118:119], v[90:91], s[26:27], v[126:127]
	v_fma_f64 v[82:83], v[82:83], s[16:17], -v[126:127]
	v_fma_f64 v[106:107], v[106:107], s[20:21], v[78:79]
	;; [unrolled: 2-line block ×3, first 2 shown]
	v_fma_f64 v[118:119], v[108:109], s[28:29], v[88:89]
	v_add_f64 v[126:127], v[86:87], v[106:107]
	v_add_f64 v[98:99], v[122:123], v[106:107]
	;; [unrolled: 1-line block ×3, first 2 shown]
	v_fma_f64 v[114:115], v[108:109], s[28:29], v[116:117]
	v_fma_f64 v[116:117], v[110:111], s[28:29], v[90:91]
	;; [unrolled: 1-line block ×4, first 2 shown]
	v_add_f64 v[80:81], v[112:113], v[124:125]
	v_add_f64 v[86:87], v[106:107], -v[118:119]
	v_add_f64 v[122:123], v[118:119], v[106:107]
	v_add_f64 v[84:85], v[116:117], v[104:105]
	v_add_f64 v[88:89], v[96:97], -v[110:111]
	v_add_f64 v[90:91], v[108:109], v[98:99]
	v_add_f64 v[96:97], v[110:111], v[96:97]
	v_add_f64 v[98:99], v[98:99], -v[108:109]
	v_add_f64 v[120:121], v[104:105], -v[116:117]
	v_add_f64 v[104:105], v[129:130], v[100:101]
	v_add_f64 v[106:107], v[131:132], v[102:103]
	;; [unrolled: 1-line block ×4, first 2 shown]
	v_add_f64 v[100:101], v[129:130], -v[100:101]
	v_add_f64 v[102:103], v[131:132], -v[102:103]
	;; [unrolled: 1-line block ×4, first 2 shown]
	v_add_f64 v[116:117], v[137:138], v[141:142]
	v_add_f64 v[118:119], v[139:140], v[143:144]
	v_add_f64 v[129:130], v[141:142], -v[137:138]
	v_add_f64 v[131:132], v[143:144], -v[139:140]
	v_add_f64 v[133:134], v[108:109], v[104:105]
	v_add_f64 v[135:136], v[110:111], v[106:107]
	v_add_f64 v[137:138], v[108:109], -v[104:105]
	v_add_f64 v[139:140], v[110:111], -v[106:107]
	;; [unrolled: 1-line block ×6, first 2 shown]
	v_add_f64 v[141:142], v[129:130], v[72:73]
	v_add_f64 v[143:144], v[131:132], v[74:75]
	v_add_f64 v[145:146], v[129:130], -v[72:73]
	v_add_f64 v[147:148], v[131:132], -v[74:75]
	v_add_f64 v[116:117], v[116:117], v[133:134]
	v_add_f64 v[118:119], v[118:119], v[135:136]
	v_add_f64 v[133:134], v[72:73], -v[100:101]
	v_add_f64 v[135:136], v[74:75], -v[102:103]
	;; [unrolled: 1-line block ×4, first 2 shown]
	v_add_f64 v[100:101], v[141:142], v[100:101]
	v_add_f64 v[102:103], v[143:144], v[102:103]
	;; [unrolled: 1-line block ×4, first 2 shown]
	v_mul_f64 v[92:93], v[104:105], s[10:11]
	v_mul_f64 v[94:95], v[106:107], s[10:11]
	;; [unrolled: 1-line block ×8, first 2 shown]
	v_fma_f64 v[116:117], v[116:117], s[20:21], v[72:73]
	v_fma_f64 v[118:119], v[118:119], s[20:21], v[74:75]
	;; [unrolled: 1-line block ×4, first 2 shown]
	v_fma_f64 v[104:105], v[137:138], s[22:23], -v[104:105]
	v_fma_f64 v[106:107], v[139:140], s[22:23], -v[106:107]
	v_fma_f64 v[92:93], v[137:138], s[24:25], -v[92:93]
	v_fma_f64 v[94:95], v[139:140], s[24:25], -v[94:95]
	v_fma_f64 v[137:138], v[129:130], s[26:27], v[141:142]
	v_fma_f64 v[139:140], v[131:132], s[26:27], v[143:144]
	v_fma_f64 v[133:134], v[133:134], s[16:17], -v[141:142]
	v_fma_f64 v[135:136], v[135:136], s[16:17], -v[143:144]
	;; [unrolled: 1-line block ×4, first 2 shown]
	v_add_f64 v[141:142], v[108:109], v[116:117]
	v_add_f64 v[143:144], v[110:111], v[118:119]
	v_fma_f64 v[137:138], v[100:101], s[28:29], v[137:138]
	v_fma_f64 v[139:140], v[102:103], s[28:29], v[139:140]
	v_add_f64 v[145:146], v[104:105], v[116:117]
	v_add_f64 v[147:148], v[106:107], v[118:119]
	;; [unrolled: 1-line block ×4, first 2 shown]
	v_fma_f64 v[131:132], v[102:103], s[28:29], v[131:132]
	v_fma_f64 v[129:130], v[100:101], s[28:29], v[129:130]
	;; [unrolled: 1-line block ×4, first 2 shown]
	v_add_f64 v[2:3], v[141:142], -v[139:140]
	v_add_f64 v[4:5], v[137:138], v[143:144]
	v_add_f64 v[82:83], v[126:127], -v[114:115]
	v_add_f64 v[92:93], v[124:125], -v[112:113]
	v_add_f64 v[94:95], v[114:115], v[126:127]
	v_add_f64 v[100:101], v[139:140], v[141:142]
	v_add_f64 v[102:103], v[143:144], -v[137:138]
	v_add_f64 v[104:105], v[131:132], v[116:117]
	v_add_f64 v[106:107], v[118:119], -v[129:130]
	v_add_f64 v[108:109], v[145:146], -v[135:136]
	v_add_f64 v[110:111], v[133:134], v[147:148]
	v_add_f64 v[112:113], v[135:136], v[145:146]
	v_add_f64 v[114:115], v[147:148], -v[133:134]
	v_add_f64 v[116:117], v[116:117], -v[131:132]
	v_add_f64 v[118:119], v[129:130], v[118:119]
	buffer_store_dword v2, off, s[52:55], 0 offset:12 ; 4-byte Folded Spill
	s_nop 0
	buffer_store_dword v3, off, s[52:55], 0 offset:16 ; 4-byte Folded Spill
	buffer_store_dword v4, off, s[52:55], 0 offset:20 ; 4-byte Folded Spill
	;; [unrolled: 1-line block ×3, first 2 shown]
	v_mul_u32_u24_e32 v2, 0x16c, v128
	v_add_lshl_u32 v200, v2, v1, 4
	s_waitcnt vmcnt(0)
	s_barrier
	ds_write_b128 v200, v[76:79]
	ds_write_b128 v200, v[80:83] offset:832
	ds_write_b128 v200, v[84:87] offset:1664
	;; [unrolled: 1-line block ×6, first 2 shown]
	s_and_saveexec_b64 s[2:3], s[0:1]
	s_cbranch_execz .LBB0_11
; %bb.10:
	ds_write_b128 v227, v[72:75] offset:17472
	ds_write_b128 v227, v[100:103] offset:18304
	;; [unrolled: 1-line block ×6, first 2 shown]
	buffer_load_dword v0, off, s[52:55], 0 offset:12 ; 4-byte Folded Reload
	buffer_load_dword v1, off, s[52:55], 0 offset:16 ; 4-byte Folded Reload
	;; [unrolled: 1-line block ×4, first 2 shown]
	s_waitcnt vmcnt(0)
	ds_write_b128 v227, v[0:3] offset:22464
.LBB0_11:
	s_or_b64 exec, exec, s[2:3]
	v_mov_b32_e32 v0, s9
	v_add_co_u32_e64 v1, s[2:3], s8, v255
	v_addc_co_u32_e64 v0, s[2:3], 0, v0, s[2:3]
	s_movk_i32 s18, 0x1000
	v_add_co_u32_e64 v72, s[2:3], s18, v1
	v_addc_co_u32_e64 v73, s[2:3], 0, v0, s[2:3]
	s_movk_i32 s17, 0x2000
	v_add_co_u32_e64 v132, s[2:3], s17, v1
	s_waitcnt lgkmcnt(0)
	s_barrier
	global_load_dwordx4 v[72:75], v[72:73], off offset:1520
	v_addc_co_u32_e64 v133, s[2:3], 0, v0, s[2:3]
	global_load_dwordx4 v[76:79], v[132:133], off offset:336
	ds_read_b128 v[80:83], v255
	ds_read_b128 v[84:87], v255 offset:2912
	ds_read_b128 v[88:91], v255 offset:11648
	;; [unrolled: 1-line block ×7, first 2 shown]
	s_movk_i32 s19, 0x3000
	v_add_co_u32_e64 v134, s[2:3], s19, v1
	s_movk_i32 s16, 0x4000
	v_addc_co_u32_e64 v135, s[2:3], 0, v0, s[2:3]
	s_waitcnt vmcnt(0) lgkmcnt(0)
	s_barrier
	v_mul_f64 v[136:137], v[90:91], v[74:75]
	v_mul_f64 v[138:139], v[88:89], v[74:75]
	;; [unrolled: 1-line block ×8, first 2 shown]
	v_fma_f64 v[88:89], v[88:89], v[72:73], -v[136:137]
	v_fma_f64 v[90:91], v[90:91], v[72:73], v[138:139]
	v_fma_f64 v[124:125], v[124:125], v[72:73], -v[144:145]
	v_fma_f64 v[92:93], v[92:93], v[76:77], -v[140:141]
	v_fma_f64 v[94:95], v[94:95], v[76:77], v[142:143]
	v_fma_f64 v[126:127], v[126:127], v[72:73], v[146:147]
	v_fma_f64 v[128:129], v[128:129], v[76:77], -v[148:149]
	v_fma_f64 v[130:131], v[130:131], v[76:77], v[150:151]
	v_add_f64 v[88:89], v[80:81], -v[88:89]
	v_add_f64 v[90:91], v[82:83], -v[90:91]
	;; [unrolled: 1-line block ×8, first 2 shown]
	v_fma_f64 v[80:81], v[80:81], 2.0, -v[88:89]
	v_fma_f64 v[82:83], v[82:83], 2.0, -v[90:91]
	;; [unrolled: 1-line block ×8, first 2 shown]
	ds_write_b128 v255, v[88:91] offset:5824
	ds_write_b128 v255, v[92:95] offset:8736
	;; [unrolled: 1-line block ×4, first 2 shown]
	ds_write_b128 v255, v[80:83]
	ds_write_b128 v255, v[84:87] offset:2912
	ds_write_b128 v255, v[96:99] offset:11648
	;; [unrolled: 1-line block ×3, first 2 shown]
	v_add_co_u32_e64 v92, s[2:3], s16, v1
	v_addc_co_u32_e64 v93, s[2:3], 0, v0, s[2:3]
	s_waitcnt lgkmcnt(0)
	s_barrier
	global_load_dwordx4 v[84:87], v[132:133], off offset:3248
	global_load_dwordx4 v[80:83], v[134:135], off offset:2064
	;; [unrolled: 1-line block ×3, first 2 shown]
	s_nop 0
	global_load_dwordx4 v[92:95], v[92:93], off offset:3792
	ds_read_b128 v[96:99], v255
	ds_read_b128 v[136:139], v255 offset:2912
	ds_read_b128 v[120:123], v255 offset:11648
	;; [unrolled: 1-line block ×7, first 2 shown]
	s_waitcnt vmcnt(3) lgkmcnt(5)
	v_mul_f64 v[144:145], v[122:123], v[86:87]
	v_mul_f64 v[146:147], v[120:121], v[86:87]
	s_waitcnt vmcnt(2) lgkmcnt(4)
	v_mul_f64 v[152:153], v[126:127], v[82:83]
	v_mul_f64 v[154:155], v[124:125], v[82:83]
	;; [unrolled: 3-line block ×4, first 2 shown]
	v_fma_f64 v[120:121], v[120:121], v[84:85], -v[144:145]
	v_fma_f64 v[122:123], v[122:123], v[84:85], v[146:147]
	v_fma_f64 v[144:145], v[124:125], v[80:81], -v[152:153]
	v_fma_f64 v[146:147], v[126:127], v[80:81], v[154:155]
	;; [unrolled: 2-line block ×4, first 2 shown]
	v_add_f64 v[124:125], v[96:97], -v[120:121]
	v_add_f64 v[126:127], v[98:99], -v[122:123]
	;; [unrolled: 1-line block ×8, first 2 shown]
	v_fma_f64 v[120:121], v[96:97], 2.0, -v[124:125]
	v_fma_f64 v[122:123], v[98:99], 2.0, -v[126:127]
	;; [unrolled: 1-line block ×8, first 2 shown]
	ds_write_b128 v255, v[124:127] offset:11648
	ds_write_b128 v255, v[128:131] offset:14560
	;; [unrolled: 1-line block ×4, first 2 shown]
	ds_write_b128 v255, v[120:123]
	ds_write_b128 v255, v[136:139] offset:2912
	ds_write_b128 v255, v[140:143] offset:5824
	;; [unrolled: 1-line block ×3, first 2 shown]
	s_waitcnt lgkmcnt(0)
	s_barrier
	s_and_saveexec_b64 s[8:9], vcc
	s_cbranch_execz .LBB0_13
; %bb.12:
	s_add_u32 s10, s14, 0x5b00
	s_addc_u32 s11, s15, 0
	ds_read_b128 v[152:155], v255
	global_load_dwordx4 v[156:159], v255, s[10:11]
	v_add_co_u32_e64 v96, s[2:3], s10, v255
	v_mov_b32_e32 v0, s11
	v_addc_co_u32_e64 v97, s[2:3], 0, v0, s[2:3]
	v_or_b32_e32 v0, 0x3800, v255
	s_waitcnt vmcnt(0) lgkmcnt(0)
	v_mul_f64 v[98:99], v[154:155], v[158:159]
	v_fma_f64 v[160:161], v[152:153], v[156:157], -v[98:99]
	v_mul_f64 v[98:99], v[152:153], v[158:159]
	v_fma_f64 v[162:163], v[154:155], v[156:157], v[98:99]
	ds_read_b128 v[152:155], v255 offset:1792
	global_load_dwordx4 v[156:159], v255, s[10:11] offset:1792
	ds_write_b128 v255, v[160:163]
	s_waitcnt vmcnt(0) lgkmcnt(1)
	v_mul_f64 v[98:99], v[154:155], v[158:159]
	v_fma_f64 v[160:161], v[152:153], v[156:157], -v[98:99]
	v_mul_f64 v[98:99], v[152:153], v[158:159]
	v_fma_f64 v[162:163], v[154:155], v[156:157], v[98:99]
	ds_read_b128 v[152:155], v255 offset:3584
	global_load_dwordx4 v[156:159], v255, s[10:11] offset:3584
	ds_write_b128 v255, v[160:163] offset:1792
	s_waitcnt vmcnt(0) lgkmcnt(1)
	v_mul_f64 v[98:99], v[154:155], v[158:159]
	v_fma_f64 v[160:161], v[152:153], v[156:157], -v[98:99]
	v_mul_f64 v[98:99], v[152:153], v[158:159]
	v_fma_f64 v[162:163], v[154:155], v[156:157], v[98:99]
	v_add_co_u32_e64 v98, s[2:3], s18, v96
	v_addc_co_u32_e64 v99, s[2:3], 0, v97, s[2:3]
	global_load_dwordx4 v[156:159], v[98:99], off offset:1280
	ds_read_b128 v[152:155], v255 offset:5376
	ds_write_b128 v255, v[160:163] offset:3584
	s_waitcnt vmcnt(0) lgkmcnt(1)
	v_mul_f64 v[160:161], v[154:155], v[158:159]
	v_fma_f64 v[160:161], v[152:153], v[156:157], -v[160:161]
	v_mul_f64 v[152:153], v[152:153], v[158:159]
	v_fma_f64 v[162:163], v[154:155], v[156:157], v[152:153]
	global_load_dwordx4 v[156:159], v[98:99], off offset:3072
	ds_read_b128 v[152:155], v255 offset:7168
	ds_write_b128 v255, v[160:163] offset:5376
	s_waitcnt vmcnt(0) lgkmcnt(1)
	v_mul_f64 v[98:99], v[154:155], v[158:159]
	v_fma_f64 v[160:161], v[152:153], v[156:157], -v[98:99]
	v_mul_f64 v[98:99], v[152:153], v[158:159]
	v_fma_f64 v[162:163], v[154:155], v[156:157], v[98:99]
	v_add_co_u32_e64 v98, s[2:3], s17, v96
	v_addc_co_u32_e64 v99, s[2:3], 0, v97, s[2:3]
	global_load_dwordx4 v[156:159], v[98:99], off offset:768
	ds_read_b128 v[152:155], v255 offset:8960
	ds_write_b128 v255, v[160:163] offset:7168
	s_waitcnt vmcnt(0) lgkmcnt(1)
	v_mul_f64 v[160:161], v[154:155], v[158:159]
	v_fma_f64 v[160:161], v[152:153], v[156:157], -v[160:161]
	v_mul_f64 v[152:153], v[152:153], v[158:159]
	v_fma_f64 v[162:163], v[154:155], v[156:157], v[152:153]
	global_load_dwordx4 v[156:159], v[98:99], off offset:2560
	ds_read_b128 v[152:155], v255 offset:10752
	ds_write_b128 v255, v[160:163] offset:8960
	s_waitcnt vmcnt(0) lgkmcnt(1)
	v_mul_f64 v[98:99], v[154:155], v[158:159]
	v_fma_f64 v[160:161], v[152:153], v[156:157], -v[98:99]
	v_mul_f64 v[98:99], v[152:153], v[158:159]
	v_fma_f64 v[162:163], v[154:155], v[156:157], v[98:99]
	v_add_co_u32_e64 v98, s[2:3], s19, v96
	v_addc_co_u32_e64 v99, s[2:3], 0, v97, s[2:3]
	global_load_dwordx4 v[156:159], v[98:99], off offset:256
	ds_read_b128 v[152:155], v255 offset:12544
	ds_write_b128 v255, v[160:163] offset:10752
	s_waitcnt vmcnt(0) lgkmcnt(1)
	v_mul_f64 v[160:161], v[154:155], v[158:159]
	v_fma_f64 v[160:161], v[152:153], v[156:157], -v[160:161]
	v_mul_f64 v[152:153], v[152:153], v[158:159]
	v_fma_f64 v[162:163], v[154:155], v[156:157], v[152:153]
	global_load_dwordx4 v[156:159], v0, s[10:11]
	ds_read_b128 v[152:155], v255 offset:14336
	ds_write_b128 v255, v[160:163] offset:12544
	s_waitcnt vmcnt(0) lgkmcnt(1)
	v_mul_f64 v[160:161], v[154:155], v[158:159]
	v_fma_f64 v[160:161], v[152:153], v[156:157], -v[160:161]
	v_mul_f64 v[152:153], v[152:153], v[158:159]
	v_fma_f64 v[162:163], v[154:155], v[156:157], v[152:153]
	global_load_dwordx4 v[156:159], v[98:99], off offset:3840
	ds_read_b128 v[152:155], v255 offset:16128
	ds_write_b128 v255, v[160:163] offset:14336
	s_waitcnt vmcnt(0) lgkmcnt(1)
	v_mul_f64 v[98:99], v[154:155], v[158:159]
	v_fma_f64 v[160:161], v[152:153], v[156:157], -v[98:99]
	v_mul_f64 v[98:99], v[152:153], v[158:159]
	v_fma_f64 v[162:163], v[154:155], v[156:157], v[98:99]
	v_add_co_u32_e64 v98, s[2:3], s16, v96
	v_addc_co_u32_e64 v99, s[2:3], 0, v97, s[2:3]
	global_load_dwordx4 v[156:159], v[98:99], off offset:1536
	ds_read_b128 v[152:155], v255 offset:17920
	s_movk_i32 s2, 0x5000
	ds_write_b128 v255, v[160:163] offset:16128
	v_add_co_u32_e64 v96, s[2:3], s2, v96
	v_addc_co_u32_e64 v97, s[2:3], 0, v97, s[2:3]
	s_waitcnt vmcnt(0) lgkmcnt(1)
	v_mul_f64 v[160:161], v[154:155], v[158:159]
	v_fma_f64 v[160:161], v[152:153], v[156:157], -v[160:161]
	v_mul_f64 v[152:153], v[152:153], v[158:159]
	v_fma_f64 v[162:163], v[154:155], v[156:157], v[152:153]
	global_load_dwordx4 v[156:159], v[98:99], off offset:3328
	ds_read_b128 v[152:155], v255 offset:19712
	ds_write_b128 v255, v[160:163] offset:17920
	s_waitcnt vmcnt(0) lgkmcnt(1)
	v_mul_f64 v[98:99], v[154:155], v[158:159]
	v_fma_f64 v[160:161], v[152:153], v[156:157], -v[98:99]
	v_mul_f64 v[98:99], v[152:153], v[158:159]
	v_fma_f64 v[162:163], v[154:155], v[156:157], v[98:99]
	global_load_dwordx4 v[96:99], v[96:97], off offset:1024
	ds_read_b128 v[152:155], v255 offset:21504
	ds_write_b128 v255, v[160:163] offset:19712
	s_waitcnt vmcnt(0) lgkmcnt(1)
	v_mul_f64 v[156:157], v[154:155], v[98:99]
	v_mul_f64 v[98:99], v[152:153], v[98:99]
	v_fma_f64 v[156:157], v[152:153], v[96:97], -v[156:157]
	v_fma_f64 v[158:159], v[154:155], v[96:97], v[98:99]
	ds_write_b128 v255, v[156:159] offset:21504
.LBB0_13:
	s_or_b64 exec, exec, s[8:9]
	s_waitcnt lgkmcnt(0)
	s_barrier
	s_and_saveexec_b64 s[2:3], vcc
	s_cbranch_execz .LBB0_15
; %bb.14:
	ds_read_b128 v[120:123], v255
	ds_read_b128 v[124:127], v255 offset:1792
	ds_read_b128 v[136:139], v255 offset:3584
	ds_read_b128 v[128:131], v255 offset:5376
	ds_read_b128 v[140:143], v255 offset:7168
	ds_read_b128 v[132:135], v255 offset:8960
	ds_read_b128 v[148:151], v255 offset:10752
	ds_read_b128 v[144:147], v255 offset:12544
	ds_read_b128 v[100:103], v255 offset:14336
	ds_read_b128 v[104:107], v255 offset:16128
	ds_read_b128 v[108:111], v255 offset:17920
	ds_read_b128 v[112:115], v255 offset:19712
	ds_read_b128 v[116:119], v255 offset:21504
.LBB0_15:
	s_or_b64 exec, exec, s[2:3]
	s_waitcnt lgkmcnt(0)
	v_add_f64 v[217:218], v[118:119], v[126:127]
	s_mov_b32 s10, 0xebaa3ed8
	s_mov_b32 s11, 0x3fbedb7d
	v_add_f64 v[203:204], v[124:125], -v[116:117]
	v_add_f64 v[172:173], v[126:127], -v[118:119]
	s_mov_b32 s22, 0x66966769
	s_mov_b32 s24, 0x2ef20147
	;; [unrolled: 1-line block ×3, first 2 shown]
	v_mul_f64 v[0:1], v[217:218], s[10:11]
	s_mov_b32 s25, 0xbfedeba7
	v_add_f64 v[201:202], v[116:117], v[124:125]
	s_mov_b32 s26, 0xb2365da1
	s_mov_b32 s20, 0x24c2f84
	;; [unrolled: 1-line block ×4, first 2 shown]
	v_mul_f64 v[2:3], v[217:218], s[26:27]
	buffer_store_dword v0, off, s[52:55], 0 offset:352 ; 4-byte Folded Spill
	s_nop 0
	buffer_store_dword v1, off, s[52:55], 0 offset:356 ; 4-byte Folded Spill
	v_add_f64 v[251:252], v[114:115], v[138:139]
	s_mov_b32 s18, 0xd0032e0c
	s_mov_b32 s34, 0x93053d00
	;; [unrolled: 1-line block ×6, first 2 shown]
	v_mul_f64 v[8:9], v[172:173], s[28:29]
	v_add_f64 v[174:175], v[138:139], -v[114:115]
	s_mov_b32 s2, 0xe00740e9
	s_mov_b32 s16, 0x42a4c3d2
	;; [unrolled: 1-line block ×4, first 2 shown]
	v_mul_f64 v[10:11], v[217:218], s[2:3]
	v_add_f64 v[225:226], v[112:113], v[136:137]
	v_fma_f64 v[96:97], v[201:202], s[2:3], -v[8:9]
	v_mul_f64 v[18:19], v[174:175], s[16:17]
	s_mov_b32 s8, 0x1ea71119
	s_mov_b32 s9, 0x3fe22d96
	v_mul_f64 v[12:13], v[172:173], s[16:17]
	v_add_f64 v[223:224], v[136:137], -v[112:113]
	v_fma_f64 v[98:99], v[203:204], s[28:29], v[10:11]
	v_mul_f64 v[22:23], v[251:252], s[8:9]
	v_add_f64 v[96:97], v[120:121], v[96:97]
	v_fma_f64 v[168:169], v[225:226], s[8:9], -v[18:19]
	v_mul_f64 v[16:17], v[217:218], s[8:9]
	v_mul_f64 v[231:232], v[174:175], s[24:25]
	v_fma_f64 v[152:153], v[201:202], s[8:9], -v[12:13]
	v_mul_f64 v[14:15], v[172:173], s[22:23]
	v_add_f64 v[98:99], v[122:123], v[98:99]
	v_mul_f64 v[239:240], v[251:252], s[26:27]
	s_mov_b32 s30, 0x4bc48dbf
	v_add_f64 v[96:97], v[168:169], v[96:97]
	v_fma_f64 v[168:169], v[223:224], s[16:17], v[22:23]
	v_fma_f64 v[154:155], v[203:204], s[16:17], v[16:17]
	v_add_f64 v[152:153], v[120:121], v[152:153]
	s_mov_b32 s31, 0xbfcea1e5
	v_fma_f64 v[156:157], v[201:202], s[10:11], -v[14:15]
	v_mul_f64 v[243:244], v[174:175], s[30:31]
	s_mov_b32 s38, s20
	s_mov_b32 s36, s22
	v_add_f64 v[98:99], v[168:169], v[98:99]
	v_fma_f64 v[168:169], v[225:226], s[26:27], -v[231:232]
	v_add_f64 v[154:155], v[122:123], v[154:155]
	v_add_f64 v[219:220], v[130:131], -v[110:111]
	v_add_f64 v[156:157], v[120:121], v[156:157]
	v_add_f64 v[205:206], v[130:131], v[110:111]
	;; [unrolled: 1-line block ×3, first 2 shown]
	v_add_f64 v[247:248], v[128:129], -v[108:109]
	s_mov_b32 s42, s24
	v_add_f64 v[152:153], v[168:169], v[152:153]
	v_fma_f64 v[168:169], v[223:224], s[24:25], v[239:240]
	s_mov_b32 s40, s28
	v_add_f64 v[178:179], v[142:143], -v[106:107]
	v_add_f64 v[237:238], v[142:143], v[106:107]
	v_mul_f64 v[20:21], v[205:206], s[8:9]
	v_add_f64 v[184:185], v[140:141], v[104:105]
	v_add_f64 v[186:187], v[140:141], -v[104:105]
	s_mov_b32 s45, 0x3fcea1e5
	v_add_f64 v[154:155], v[168:169], v[154:155]
	v_fma_f64 v[168:169], v[225:226], s[34:35], -v[243:244]
	s_mov_b32 s44, s30
	v_mul_f64 v[229:230], v[237:238], s[10:11]
	v_mul_f64 v[233:234], v[178:179], s[44:45]
	;; [unrolled: 1-line block ×3, first 2 shown]
	v_add_f64 v[180:181], v[102:103], v[134:135]
	v_add_f64 v[213:214], v[100:101], v[132:133]
	v_add_f64 v[215:216], v[132:133], -v[100:101]
	v_add_f64 v[156:157], v[168:169], v[156:157]
	v_add_f64 v[198:199], v[150:151], -v[146:147]
	v_add_f64 v[241:242], v[144:145], v[148:149]
	v_add_f64 v[249:250], v[148:149], -v[144:145]
	s_mov_b32 s49, 0x3fea55e2
	v_mul_f64 v[253:254], v[180:181], s[34:35]
	v_mul_f64 v[190:191], v[180:181], s[2:3]
	s_mov_b32 s48, s16
	v_mul_f64 v[6:7], v[198:199], s[30:31]
	v_fma_f64 v[158:159], v[203:204], s[22:23], v[0:1]
	v_mul_f64 v[0:1], v[172:173], s[24:25]
	buffer_store_dword v0, off, s[52:55], 0 offset:112 ; 4-byte Folded Spill
	s_nop 0
	buffer_store_dword v1, off, s[52:55], 0 offset:116 ; 4-byte Folded Spill
	buffer_store_dword v2, off, s[52:55], 0 offset:144 ; 4-byte Folded Spill
	s_nop 0
	buffer_store_dword v3, off, s[52:55], 0 offset:148 ; 4-byte Folded Spill
	v_add_f64 v[158:159], v[122:123], v[158:159]
	v_fma_f64 v[160:161], v[201:202], s[26:27], -v[0:1]
	v_mul_f64 v[0:1], v[172:173], s[20:21]
	v_fma_f64 v[162:163], v[203:204], s[24:25], v[2:3]
	v_mul_f64 v[2:3], v[217:218], s[18:19]
	buffer_store_dword v0, off, s[52:55], 0 offset:184 ; 4-byte Folded Spill
	s_nop 0
	buffer_store_dword v1, off, s[52:55], 0 offset:188 ; 4-byte Folded Spill
	buffer_store_dword v2, off, s[52:55], 0 offset:224 ; 4-byte Folded Spill
	s_nop 0
	buffer_store_dword v3, off, s[52:55], 0 offset:228 ; 4-byte Folded Spill
	v_add_f64 v[160:161], v[120:121], v[160:161]
	v_add_f64 v[162:163], v[122:123], v[162:163]
	v_fma_f64 v[164:165], v[201:202], s[18:19], -v[0:1]
	v_mul_f64 v[0:1], v[251:252], s[34:35]
	v_fma_f64 v[166:167], v[203:204], s[20:21], v[2:3]
	v_mul_f64 v[2:3], v[251:252], s[18:19]
	buffer_store_dword v0, off, s[52:55], 0 offset:152 ; 4-byte Folded Spill
	s_nop 0
	buffer_store_dword v1, off, s[52:55], 0 offset:156 ; 4-byte Folded Spill
	v_add_f64 v[164:165], v[120:121], v[164:165]
	v_add_f64 v[166:167], v[122:123], v[166:167]
	v_fma_f64 v[168:169], v[223:224], s[30:31], v[0:1]
	v_mul_f64 v[0:1], v[174:175], s[38:39]
	buffer_store_dword v0, off, s[52:55], 0 offset:192 ; 4-byte Folded Spill
	s_nop 0
	buffer_store_dword v1, off, s[52:55], 0 offset:196 ; 4-byte Folded Spill
	v_add_f64 v[158:159], v[168:169], v[158:159]
	buffer_store_dword v2, off, s[52:55], 0 offset:232 ; 4-byte Folded Spill
	s_nop 0
	buffer_store_dword v3, off, s[52:55], 0 offset:236 ; 4-byte Folded Spill
	v_fma_f64 v[168:169], v[225:226], s[18:19], -v[0:1]
	v_mul_f64 v[0:1], v[174:175], s[36:37]
	buffer_store_dword v0, off, s[52:55], 0 offset:264 ; 4-byte Folded Spill
	s_nop 0
	buffer_store_dword v1, off, s[52:55], 0 offset:268 ; 4-byte Folded Spill
	v_add_f64 v[160:161], v[168:169], v[160:161]
	v_fma_f64 v[168:169], v[223:224], s[38:39], v[2:3]
	v_mul_f64 v[2:3], v[251:252], s[10:11]
	buffer_store_dword v2, off, s[52:55], 0 offset:312 ; 4-byte Folded Spill
	s_nop 0
	buffer_store_dword v3, off, s[52:55], 0 offset:316 ; 4-byte Folded Spill
	v_add_f64 v[162:163], v[168:169], v[162:163]
	v_fma_f64 v[168:169], v[225:226], s[10:11], -v[0:1]
	v_mul_f64 v[0:1], v[219:220], s[22:23]
	buffer_store_dword v0, off, s[52:55], 0 offset:120 ; 4-byte Folded Spill
	s_nop 0
	buffer_store_dword v1, off, s[52:55], 0 offset:124 ; 4-byte Folded Spill
	v_add_f64 v[164:165], v[168:169], v[164:165]
	v_fma_f64 v[168:169], v[223:224], s[36:37], v[2:3]
	v_mul_f64 v[2:3], v[205:206], s[10:11]
	buffer_store_dword v2, off, s[52:55], 0 offset:128 ; 4-byte Folded Spill
	s_nop 0
	buffer_store_dword v3, off, s[52:55], 0 offset:132 ; 4-byte Folded Spill
	v_add_f64 v[166:167], v[168:169], v[166:167]
	;; [unrolled: 12-line block ×5, first 2 shown]
	v_fma_f64 v[168:169], v[245:246], s[2:3], -v[0:1]
	v_mul_f64 v[0:1], v[219:220], s[16:17]
	buffer_store_dword v0, off, s[52:55], 0 offset:344 ; 4-byte Folded Spill
	s_nop 0
	buffer_store_dword v1, off, s[52:55], 0 offset:348 ; 4-byte Folded Spill
	v_add_f64 v[160:161], v[168:169], v[160:161]
	v_fma_f64 v[168:169], v[247:248], s[40:41], v[2:3]
	v_mul_f64 v[2:3], v[237:238], s[26:27]
	v_add_f64 v[162:163], v[168:169], v[162:163]
	v_fma_f64 v[168:169], v[245:246], s[8:9], -v[0:1]
	v_mul_f64 v[0:1], v[178:179], s[24:25]
	buffer_store_dword v0, off, s[52:55], 0 offset:200 ; 4-byte Folded Spill
	s_nop 0
	buffer_store_dword v1, off, s[52:55], 0 offset:204 ; 4-byte Folded Spill
	buffer_store_dword v2, off, s[52:55], 0 offset:208 ; 4-byte Folded Spill
	s_nop 0
	buffer_store_dword v3, off, s[52:55], 0 offset:212 ; 4-byte Folded Spill
	v_add_f64 v[164:165], v[168:169], v[164:165]
	v_fma_f64 v[168:169], v[247:248], s[16:17], v[20:21]
	v_add_f64 v[166:167], v[168:169], v[166:167]
	v_fma_f64 v[168:169], v[184:185], s[26:27], -v[0:1]
	v_mul_f64 v[0:1], v[178:179], s[38:39]
	buffer_store_dword v0, off, s[52:55], 0 offset:216 ; 4-byte Folded Spill
	s_nop 0
	buffer_store_dword v1, off, s[52:55], 0 offset:220 ; 4-byte Folded Spill
	v_add_f64 v[168:169], v[168:169], v[96:97]
	v_fma_f64 v[96:97], v[186:187], s[24:25], v[2:3]
	v_mul_f64 v[2:3], v[237:238], s[18:19]
	buffer_store_dword v2, off, s[52:55], 0 offset:240 ; 4-byte Folded Spill
	s_nop 0
	buffer_store_dword v3, off, s[52:55], 0 offset:244 ; 4-byte Folded Spill
	v_add_f64 v[98:99], v[96:97], v[98:99]
	v_fma_f64 v[96:97], v[184:185], s[18:19], -v[0:1]
	v_mul_f64 v[0:1], v[178:179], s[40:41]
	buffer_store_dword v0, off, s[52:55], 0 offset:248 ; 4-byte Folded Spill
	s_nop 0
	buffer_store_dword v1, off, s[52:55], 0 offset:252 ; 4-byte Folded Spill
	v_add_f64 v[152:153], v[96:97], v[152:153]
	v_fma_f64 v[96:97], v[186:187], s[38:39], v[2:3]
	v_mul_f64 v[2:3], v[237:238], s[2:3]
	buffer_store_dword v2, off, s[52:55], 0 offset:256 ; 4-byte Folded Spill
	s_nop 0
	buffer_store_dword v3, off, s[52:55], 0 offset:260 ; 4-byte Folded Spill
	v_add_f64 v[154:155], v[96:97], v[154:155]
	v_fma_f64 v[96:97], v[184:185], s[2:3], -v[0:1]
	v_mul_f64 v[0:1], v[178:179], s[22:23]
	v_add_f64 v[156:157], v[96:97], v[156:157]
	v_mov_b32_e32 v236, v1
	v_mov_b32_e32 v235, v0
	v_fma_f64 v[96:97], v[186:187], s[40:41], v[2:3]
	v_mul_f64 v[2:3], v[180:181], s[18:19]
	v_add_f64 v[158:159], v[96:97], v[158:159]
	v_fma_f64 v[96:97], v[184:185], s[10:11], -v[0:1]
	v_add_f64 v[160:161], v[96:97], v[160:161]
	v_fma_f64 v[96:97], v[186:187], s[22:23], v[229:230]
	v_add_f64 v[162:163], v[96:97], v[162:163]
	v_fma_f64 v[96:97], v[184:185], s[34:35], -v[233:234]
	v_add_f64 v[164:165], v[96:97], v[164:165]
	v_fma_f64 v[96:97], v[186:187], s[44:45], v[176:177]
	v_add_f64 v[166:167], v[96:97], v[166:167]
	v_add_f64 v[96:97], v[134:135], -v[102:103]
	v_mul_f64 v[0:1], v[96:97], s[20:21]
	buffer_store_dword v0, off, s[52:55], 0 offset:280 ; 4-byte Folded Spill
	s_nop 0
	buffer_store_dword v1, off, s[52:55], 0 offset:284 ; 4-byte Folded Spill
	buffer_store_dword v2, off, s[52:55], 0 offset:288 ; 4-byte Folded Spill
	s_nop 0
	buffer_store_dword v3, off, s[52:55], 0 offset:292 ; 4-byte Folded Spill
	v_mul_f64 v[182:183], v[96:97], s[40:41]
	v_fma_f64 v[170:171], v[213:214], s[18:19], -v[0:1]
	v_mul_f64 v[0:1], v[96:97], s[36:37]
	buffer_store_dword v0, off, s[52:55], 0 offset:296 ; 4-byte Folded Spill
	s_nop 0
	buffer_store_dword v1, off, s[52:55], 0 offset:300 ; 4-byte Folded Spill
	v_add_f64 v[168:169], v[170:171], v[168:169]
	v_fma_f64 v[170:171], v[215:216], s[20:21], v[2:3]
	v_mul_f64 v[2:3], v[180:181], s[10:11]
	buffer_store_dword v2, off, s[52:55], 0 offset:320 ; 4-byte Folded Spill
	s_nop 0
	buffer_store_dword v3, off, s[52:55], 0 offset:324 ; 4-byte Folded Spill
	v_add_f64 v[170:171], v[170:171], v[98:99]
	v_fma_f64 v[98:99], v[213:214], s[10:11], -v[0:1]
	v_mul_f64 v[0:1], v[96:97], s[16:17]
	buffer_store_dword v0, off, s[52:55], 0 offset:328 ; 4-byte Folded Spill
	s_nop 0
	buffer_store_dword v1, off, s[52:55], 0 offset:332 ; 4-byte Folded Spill
	v_add_f64 v[188:189], v[98:99], v[152:153]
	v_fma_f64 v[98:99], v[215:216], s[36:37], v[2:3]
	v_mul_f64 v[2:3], v[180:181], s[8:9]
	buffer_store_dword v2, off, s[52:55], 0 offset:336 ; 4-byte Folded Spill
	s_nop 0
	buffer_store_dword v3, off, s[52:55], 0 offset:340 ; 4-byte Folded Spill
	v_add_f64 v[192:193], v[98:99], v[154:155]
	v_fma_f64 v[98:99], v[213:214], s[8:9], -v[0:1]
	v_mul_f64 v[0:1], v[96:97], s[44:45]
	buffer_store_dword v0, off, s[52:55], 0 offset:392 ; 4-byte Folded Spill
	s_nop 0
	buffer_store_dword v1, off, s[52:55], 0 offset:396 ; 4-byte Folded Spill
	v_add_f64 v[194:195], v[98:99], v[156:157]
	v_fma_f64 v[98:99], v[215:216], s[16:17], v[2:3]
	buffer_store_dword v6, off, s[52:55], 0 offset:360 ; 4-byte Folded Spill
	s_nop 0
	buffer_store_dword v7, off, s[52:55], 0 offset:364 ; 4-byte Folded Spill
	v_fma_f64 v[2:3], v[213:214], s[2:3], -v[182:183]
	v_add_f64 v[196:197], v[98:99], v[158:159]
	v_add_f64 v[2:3], v[2:3], v[164:165]
	v_fma_f64 v[98:99], v[213:214], s[34:35], -v[0:1]
	v_fma_f64 v[6:7], v[241:242], s[34:35], -v[6:7]
	v_add_f64 v[207:208], v[98:99], v[160:161]
	v_fma_f64 v[98:99], v[215:216], s[44:45], v[253:254]
	v_add_f64 v[152:153], v[6:7], v[168:169]
	v_add_f64 v[0:1], v[98:99], v[162:163]
	v_fma_f64 v[98:99], v[215:216], s[40:41], v[190:191]
	v_add_f64 v[4:5], v[98:99], v[166:167]
	v_add_f64 v[98:99], v[146:147], v[150:151]
	v_mul_f64 v[154:155], v[98:99], s[34:35]
	buffer_store_dword v154, off, s[52:55], 0 offset:368 ; 4-byte Folded Spill
	s_nop 0
	buffer_store_dword v155, off, s[52:55], 0 offset:372 ; 4-byte Folded Spill
	v_mul_f64 v[158:159], v[98:99], s[2:3]
	v_mul_f64 v[162:163], v[98:99], s[18:19]
	v_fma_f64 v[6:7], v[249:250], s[30:31], v[154:155]
	v_add_f64 v[154:155], v[6:7], v[170:171]
	v_mul_f64 v[6:7], v[198:199], s[40:41]
	buffer_store_dword v6, off, s[52:55], 0 offset:376 ; 4-byte Folded Spill
	s_nop 0
	buffer_store_dword v7, off, s[52:55], 0 offset:380 ; 4-byte Folded Spill
	buffer_store_dword v158, off, s[52:55], 0 offset:384 ; 4-byte Folded Spill
	s_nop 0
	buffer_store_dword v159, off, s[52:55], 0 offset:388 ; 4-byte Folded Spill
	v_fma_f64 v[6:7], v[241:242], s[2:3], -v[6:7]
	v_add_f64 v[156:157], v[6:7], v[188:189]
	v_fma_f64 v[6:7], v[249:250], s[40:41], v[158:159]
	v_mul_f64 v[188:189], v[198:199], s[48:49]
	v_add_f64 v[158:159], v[6:7], v[192:193]
	v_mul_f64 v[6:7], v[198:199], s[20:21]
	buffer_store_dword v6, off, s[52:55], 0 offset:400 ; 4-byte Folded Spill
	s_nop 0
	buffer_store_dword v7, off, s[52:55], 0 offset:404 ; 4-byte Folded Spill
	buffer_store_dword v162, off, s[52:55], 0 offset:408 ; 4-byte Folded Spill
	s_nop 0
	buffer_store_dword v163, off, s[52:55], 0 offset:412 ; 4-byte Folded Spill
	v_mul_f64 v[192:193], v[98:99], s[8:9]
	s_waitcnt vmcnt(0)
	s_barrier
	v_fma_f64 v[6:7], v[241:242], s[18:19], -v[6:7]
	v_add_f64 v[160:161], v[6:7], v[194:195]
	v_fma_f64 v[6:7], v[249:250], s[20:21], v[162:163]
	v_mul_f64 v[194:195], v[198:199], s[24:25]
	v_add_f64 v[162:163], v[6:7], v[196:197]
	v_fma_f64 v[6:7], v[241:242], s[8:9], -v[188:189]
	v_mul_f64 v[196:197], v[98:99], s[26:27]
	v_add_f64 v[164:165], v[6:7], v[207:208]
	v_fma_f64 v[6:7], v[249:250], s[48:49], v[192:193]
	v_add_f64 v[166:167], v[6:7], v[0:1]
	v_fma_f64 v[0:1], v[241:242], s[26:27], -v[194:195]
	v_add_f64 v[168:169], v[0:1], v[2:3]
	v_fma_f64 v[0:1], v[249:250], s[24:25], v[196:197]
	v_add_f64 v[170:171], v[0:1], v[4:5]
	s_and_saveexec_b64 s[46:47], vcc
	s_cbranch_execz .LBB0_17
; %bb.16:
	v_mul_f64 v[0:1], v[203:204], s[30:31]
	v_mul_f64 v[2:3], v[223:224], s[40:41]
	buffer_store_dword v8, off, s[52:55], 0 offset:432 ; 4-byte Folded Spill
	s_nop 0
	buffer_store_dword v9, off, s[52:55], 0 offset:436 ; 4-byte Folded Spill
	v_mul_f64 v[6:7], v[172:173], s[30:31]
	v_mul_f64 v[8:9], v[247:248], s[20:21]
	buffer_store_dword v10, off, s[52:55], 0 offset:440 ; 4-byte Folded Spill
	s_nop 0
	buffer_store_dword v11, off, s[52:55], 0 offset:444 ; 4-byte Folded Spill
	v_mul_f64 v[207:208], v[174:175], s[40:41]
	buffer_store_dword v12, off, s[52:55], 0 offset:448 ; 4-byte Folded Spill
	s_nop 0
	buffer_store_dword v13, off, s[52:55], 0 offset:452 ; 4-byte Folded Spill
	v_fma_f64 v[4:5], v[217:218], s[34:35], v[0:1]
	v_fma_f64 v[172:173], v[251:252], s[2:3], v[2:3]
	v_mul_f64 v[12:13], v[215:216], s[24:25]
	v_fma_f64 v[174:175], v[201:202], s[34:35], -v[6:7]
	v_fma_f64 v[10:11], v[205:206], s[18:19], v[8:9]
	buffer_store_dword v14, off, s[52:55], 0 offset:464 ; 4-byte Folded Spill
	s_nop 0
	buffer_store_dword v15, off, s[52:55], 0 offset:468 ; 4-byte Folded Spill
	v_mul_f64 v[178:179], v[178:179], s[48:49]
	buffer_store_dword v16, off, s[52:55], 0 offset:504 ; 4-byte Folded Spill
	s_nop 0
	buffer_store_dword v17, off, s[52:55], 0 offset:508 ; 4-byte Folded Spill
	v_add_f64 v[4:5], v[122:123], v[4:5]
	v_mul_f64 v[16:17], v[249:250], s[36:37]
	v_fma_f64 v[14:15], v[180:181], s[26:27], v[12:13]
	v_add_f64 v[174:175], v[120:121], v[174:175]
	buffer_store_dword v18, off, s[52:55], 0 offset:456 ; 4-byte Folded Spill
	s_nop 0
	buffer_store_dword v19, off, s[52:55], 0 offset:460 ; 4-byte Folded Spill
	v_mul_f64 v[198:199], v[198:199], s[36:37]
	v_fma_f64 v[0:1], v[217:218], s[34:35], -v[0:1]
	v_fma_f64 v[2:3], v[251:252], s[2:3], -v[2:3]
	v_add_f64 v[4:5], v[172:173], v[4:5]
	v_fma_f64 v[172:173], v[225:226], s[2:3], -v[207:208]
	v_fma_f64 v[18:19], v[98:99], s[10:11], v[16:17]
	v_fma_f64 v[6:7], v[201:202], s[34:35], v[6:7]
	v_fma_f64 v[12:13], v[180:181], s[26:27], -v[12:13]
	v_mul_f64 v[180:181], v[201:202], s[10:11]
	v_add_f64 v[0:1], v[122:123], v[0:1]
	v_mul_f64 v[217:218], v[186:187], s[44:45]
	v_add_f64 v[4:5], v[10:11], v[4:5]
	;; [unrolled: 2-line block ×6, first 2 shown]
	v_fma_f64 v[174:175], v[245:246], s[18:19], -v[10:11]
	v_fma_f64 v[10:11], v[245:246], s[18:19], v[10:11]
	v_add_f64 v[124:125], v[120:121], v[124:125]
	v_add_f64 v[172:173], v[174:175], v[172:173]
	v_fma_f64 v[174:175], v[237:238], s[8:9], v[219:220]
	v_add_f64 v[124:125], v[136:137], v[124:125]
	v_add_f64 v[4:5], v[174:175], v[4:5]
	v_fma_f64 v[174:175], v[184:185], s[8:9], -v[178:179]
	v_fma_f64 v[178:179], v[184:185], s[8:9], v[178:179]
	v_add_f64 v[4:5], v[14:15], v[4:5]
	v_mul_f64 v[14:15], v[96:97], s[24:25]
	v_add_f64 v[172:173], v[174:175], v[172:173]
	v_add_f64 v[174:175], v[18:19], v[4:5]
	v_fma_f64 v[96:97], v[213:214], s[26:27], -v[14:15]
	v_fma_f64 v[4:5], v[241:242], s[10:11], -v[198:199]
	v_mul_f64 v[18:19], v[201:202], s[2:3]
	v_fma_f64 v[14:15], v[213:214], s[26:27], v[14:15]
	v_fma_f64 v[198:199], v[241:242], s[10:11], v[198:199]
	v_add_f64 v[96:97], v[96:97], v[172:173]
	v_add_f64 v[172:173], v[4:5], v[96:97]
	v_fma_f64 v[4:5], v[205:206], s[18:19], -v[8:9]
	v_fma_f64 v[8:9], v[98:99], s[10:11], -v[16:17]
	v_fma_f64 v[16:17], v[225:226], s[2:3], v[207:208]
	v_mul_f64 v[98:99], v[223:224], s[36:37]
	buffer_store_dword v172, off, s[52:55], 0 offset:416 ; 4-byte Folded Spill
	s_nop 0
	buffer_store_dword v173, off, s[52:55], 0 offset:420 ; 4-byte Folded Spill
	buffer_store_dword v174, off, s[52:55], 0 offset:424 ; 4-byte Folded Spill
	;; [unrolled: 1-line block ×4, first 2 shown]
	s_nop 0
	buffer_store_dword v19, off, s[52:55], 0 offset:476 ; 4-byte Folded Spill
	v_mul_f64 v[18:19], v[203:204], s[28:29]
	v_add_f64 v[0:1], v[4:5], v[0:1]
	v_mul_f64 v[4:5], v[201:202], s[8:9]
	v_add_f64 v[6:7], v[16:17], v[6:7]
	buffer_store_dword v18, off, s[52:55], 0 offset:488 ; 4-byte Folded Spill
	s_nop 0
	buffer_store_dword v19, off, s[52:55], 0 offset:492 ; 4-byte Folded Spill
	buffer_store_dword v4, off, s[52:55], 0 offset:480 ; 4-byte Folded Spill
	s_nop 0
	buffer_store_dword v5, off, s[52:55], 0 offset:484 ; 4-byte Folded Spill
	buffer_load_dword v4, off, s[52:55], 0 offset:224 ; 4-byte Folded Reload
	s_nop 0
	buffer_load_dword v5, off, s[52:55], 0 offset:228 ; 4-byte Folded Reload
	v_add_f64 v[6:7], v[10:11], v[6:7]
	v_mul_f64 v[10:11], v[201:202], s[26:27]
	v_mul_f64 v[201:202], v[201:202], s[18:19]
	v_fma_f64 v[96:97], v[237:238], s[8:9], -v[219:220]
	v_mul_f64 v[16:17], v[203:204], s[16:17]
	v_mul_f64 v[207:208], v[203:204], s[22:23]
	;; [unrolled: 1-line block ×3, first 2 shown]
	v_mov_b32_e32 v18, v22
	v_add_f64 v[6:7], v[178:179], v[6:7]
	v_mov_b32_e32 v19, v23
	v_mul_f64 v[219:220], v[225:226], s[26:27]
	v_add_f64 v[0:1], v[96:97], v[0:1]
	v_mul_f64 v[96:97], v[247:248], s[16:17]
	v_mul_f64 v[237:238], v[245:246], s[10:11]
	v_mov_b32_e32 v174, v221
	v_mov_b32_e32 v175, v222
	v_mul_f64 v[172:173], v[241:242], s[2:3]
	v_add_f64 v[0:1], v[12:13], v[0:1]
	v_add_f64 v[96:97], v[20:21], -v[96:97]
	v_mul_f64 v[12:13], v[215:216], s[40:41]
	v_mul_f64 v[20:21], v[184:185], s[2:3]
	v_add_f64 v[12:13], v[190:191], -v[12:13]
	v_mul_f64 v[190:191], v[249:250], s[24:25]
	v_add_f64 v[190:191], v[196:197], -v[190:191]
	v_mul_f64 v[196:197], v[241:242], s[26:27]
	v_add_f64 v[205:206], v[196:197], v[194:195]
	v_mul_f64 v[196:197], v[213:214], s[2:3]
	v_mul_f64 v[194:195], v[184:185], s[26:27]
	v_add_f64 v[182:183], v[196:197], v[182:183]
	v_mul_f64 v[196:197], v[186:187], s[22:23]
	v_add_f64 v[196:197], v[229:230], -v[196:197]
	v_mul_f64 v[229:230], v[186:187], s[38:39]
	s_waitcnt vmcnt(0)
	v_add_f64 v[2:3], v[4:5], -v[2:3]
	buffer_load_dword v4, off, s[52:55], 0 offset:312 ; 4-byte Folded Reload
	buffer_load_dword v5, off, s[52:55], 0 offset:316 ; 4-byte Folded Reload
	v_add_f64 v[2:3], v[122:123], v[2:3]
	s_waitcnt vmcnt(0)
	v_add_f64 v[98:99], v[4:5], -v[98:99]
	v_mul_f64 v[4:5], v[225:226], s[8:9]
	buffer_store_dword v4, off, s[52:55], 0 offset:312 ; 4-byte Folded Spill
	s_nop 0
	buffer_store_dword v5, off, s[52:55], 0 offset:316 ; 4-byte Folded Spill
	v_mul_f64 v[4:5], v[223:224], s[16:17]
	buffer_store_dword v4, off, s[52:55], 0 offset:496 ; 4-byte Folded Spill
	s_nop 0
	buffer_store_dword v5, off, s[52:55], 0 offset:500 ; 4-byte Folded Spill
	v_add_f64 v[4:5], v[14:15], v[6:7]
	buffer_store_dword v4, off, s[52:55], 0 offset:224 ; 4-byte Folded Spill
	s_nop 0
	buffer_store_dword v5, off, s[52:55], 0 offset:228 ; 4-byte Folded Spill
	buffer_load_dword v4, off, s[52:55], 0 offset:184 ; 4-byte Folded Reload
	s_nop 0
	buffer_load_dword v5, off, s[52:55], 0 offset:188 ; 4-byte Folded Reload
	v_add_f64 v[2:3], v[98:99], v[2:3]
	v_add_f64 v[98:99], v[176:177], -v[217:218]
	v_mul_f64 v[14:15], v[223:224], s[24:25]
	v_mul_f64 v[217:218], v[223:224], s[30:31]
	;; [unrolled: 1-line block ×3, first 2 shown]
	v_add_f64 v[2:3], v[96:97], v[2:3]
	v_mul_f64 v[96:97], v[225:226], s[10:11]
	v_add_f64 v[2:3], v[98:99], v[2:3]
	v_mul_f64 v[98:99], v[245:246], s[8:9]
	;; [unrolled: 2-line block ×4, first 2 shown]
	s_waitcnt vmcnt(0)
	v_add_f64 v[178:179], v[201:202], v[4:5]
	buffer_load_dword v4, off, s[52:55], 0 offset:264 ; 4-byte Folded Reload
	buffer_load_dword v5, off, s[52:55], 0 offset:268 ; 4-byte Folded Reload
	v_mul_f64 v[201:202], v[225:226], s[34:35]
	v_mul_f64 v[225:226], v[225:226], s[18:19]
	v_add_f64 v[178:179], v[120:121], v[178:179]
	v_add_f64 v[136:137], v[201:202], v[243:244]
	s_waitcnt vmcnt(0)
	v_add_f64 v[96:97], v[96:97], v[4:5]
	buffer_load_dword v4, off, s[52:55], 0 offset:344 ; 4-byte Folded Reload
	buffer_load_dword v5, off, s[52:55], 0 offset:348 ; 4-byte Folded Reload
	v_add_f64 v[96:97], v[96:97], v[178:179]
	s_waitcnt vmcnt(0)
	v_add_f64 v[98:99], v[98:99], v[4:5]
	buffer_load_dword v4, off, s[52:55], 0 offset:144 ; 4-byte Folded Reload
	buffer_load_dword v5, off, s[52:55], 0 offset:148 ; 4-byte Folded Reload
	v_add_f64 v[96:97], v[98:99], v[96:97]
	v_mul_f64 v[98:99], v[247:248], s[40:41]
	v_mul_f64 v[247:248], v[247:248], s[42:43]
	v_add_f64 v[12:13], v[12:13], v[96:97]
	v_mul_f64 v[96:97], v[184:185], s[18:19]
	v_add_f64 v[176:177], v[182:183], v[12:13]
	;; [unrolled: 2-line block ×3, first 2 shown]
	s_waitcnt vmcnt(0)
	v_add_f64 v[178:179], v[4:5], -v[203:204]
	buffer_load_dword v4, off, s[52:55], 0 offset:232 ; 4-byte Folded Reload
	buffer_load_dword v5, off, s[52:55], 0 offset:236 ; 4-byte Folded Reload
	;; [unrolled: 1-line block ×4, first 2 shown]
	v_mul_f64 v[203:204], v[245:246], s[34:35]
	v_add_f64 v[178:179], v[122:123], v[178:179]
	s_waitcnt vmcnt(2)
	v_add_f64 v[223:224], v[4:5], -v[223:224]
	s_waitcnt vmcnt(0)
	v_add_f64 v[98:99], v[6:7], -v[98:99]
	buffer_load_dword v6, off, s[52:55], 0 offset:112 ; 4-byte Folded Reload
	buffer_load_dword v7, off, s[52:55], 0 offset:116 ; 4-byte Folded Reload
	v_mul_f64 v[4:5], v[245:246], s[26:27]
	v_mul_f64 v[245:246], v[245:246], s[2:3]
	v_add_f64 v[178:179], v[223:224], v[178:179]
	v_mul_f64 v[223:224], v[186:187], s[24:25]
	v_mul_f64 v[186:187], v[186:187], s[40:41]
	v_add_f64 v[22:23], v[98:99], v[178:179]
	v_mul_f64 v[98:99], v[215:216], s[44:45]
	v_mul_f64 v[178:179], v[184:185], s[10:11]
	;; [unrolled: 1-line block ×3, first 2 shown]
	v_add_f64 v[22:23], v[196:197], v[22:23]
	v_add_f64 v[98:99], v[253:254], -v[98:99]
	v_add_f64 v[221:222], v[178:179], v[235:236]
	v_add_f64 v[178:179], v[190:191], v[2:3]
	v_mul_f64 v[235:236], v[241:242], s[18:19]
	v_mul_f64 v[196:197], v[213:214], s[10:11]
	;; [unrolled: 1-line block ×3, first 2 shown]
	v_add_f64 v[22:23], v[98:99], v[22:23]
	v_add_f64 v[192:193], v[192:193], -v[253:254]
	v_mul_f64 v[253:254], v[249:250], s[30:31]
	s_waitcnt vmcnt(0)
	v_add_f64 v[10:11], v[10:11], v[6:7]
	buffer_load_dword v6, off, s[52:55], 0 offset:192 ; 4-byte Folded Reload
	buffer_load_dword v7, off, s[52:55], 0 offset:196 ; 4-byte Folded Reload
	v_add_f64 v[10:11], v[120:121], v[10:11]
	s_waitcnt vmcnt(0)
	v_add_f64 v[182:183], v[225:226], v[6:7]
	buffer_load_dword v6, off, s[52:55], 0 offset:272 ; 4-byte Folded Reload
	buffer_load_dword v7, off, s[52:55], 0 offset:276 ; 4-byte Folded Reload
	;; [unrolled: 1-line block ×4, first 2 shown]
	v_mul_f64 v[225:226], v[215:216], s[20:21]
	v_add_f64 v[10:11], v[182:183], v[10:11]
	v_mul_f64 v[182:183], v[213:214], s[34:35]
	v_mul_f64 v[213:214], v[241:242], s[34:35]
	;; [unrolled: 1-line block ×3, first 2 shown]
	s_waitcnt vmcnt(2)
	v_add_f64 v[245:246], v[245:246], v[6:7]
	s_waitcnt vmcnt(0)
	v_add_f64 v[207:208], v[98:99], -v[207:208]
	v_add_f64 v[98:99], v[8:9], v[0:1]
	buffer_load_dword v0, off, s[52:55], 0 offset:392 ; 4-byte Folded Reload
	buffer_load_dword v1, off, s[52:55], 0 offset:396 ; 4-byte Folded Reload
	buffer_load_dword v8, off, s[52:55], 0 offset:152 ; 4-byte Folded Reload
	buffer_load_dword v9, off, s[52:55], 0 offset:156 ; 4-byte Folded Reload
	v_mul_f64 v[6:7], v[215:216], s[36:37]
	v_mul_f64 v[215:216], v[215:216], s[16:17]
	v_add_f64 v[10:11], v[245:246], v[10:11]
	v_mul_f64 v[245:246], v[249:250], s[40:41]
	v_mul_f64 v[249:250], v[249:250], s[20:21]
	v_add_f64 v[2:3], v[221:222], v[10:11]
	v_mov_b32_e32 v222, v175
	v_mov_b32_e32 v221, v174
	buffer_load_dword v174, off, s[52:55], 0 offset:504 ; 4-byte Folded Reload
	buffer_load_dword v175, off, s[52:55], 0 offset:508 ; 4-byte Folded Reload
	v_add_f64 v[10:11], v[122:123], v[207:208]
	s_waitcnt vmcnt(4)
	v_add_f64 v[0:1], v[182:183], v[0:1]
	s_waitcnt vmcnt(2)
	v_add_f64 v[8:9], v[8:9], -v[217:218]
	v_add_f64 v[182:183], v[192:193], v[22:23]
	v_add_f64 v[22:23], v[241:242], v[188:189]
	;; [unrolled: 1-line block ×3, first 2 shown]
	buffer_load_dword v2, off, s[52:55], 0 offset:176 ; 4-byte Folded Reload
	buffer_load_dword v3, off, s[52:55], 0 offset:180 ; 4-byte Folded Reload
	v_add_f64 v[8:9], v[8:9], v[10:11]
	v_add_f64 v[10:11], v[239:240], -v[14:15]
	s_waitcnt vmcnt(2)
	v_add_f64 v[16:17], v[174:175], -v[16:17]
	buffer_load_dword v174, off, s[52:55], 0 offset:464 ; 4-byte Folded Reload
	buffer_load_dword v175, off, s[52:55], 0 offset:468 ; 4-byte Folded Reload
	v_add_f64 v[14:15], v[122:123], v[16:17]
	v_add_f64 v[16:17], v[138:139], v[126:127]
	buffer_load_dword v126, off, s[52:55], 0 offset:256 ; 4-byte Folded Reload
	buffer_load_dword v127, off, s[52:55], 0 offset:260 ; 4-byte Folded Reload
	v_add_f64 v[10:11], v[10:11], v[14:15]
	v_add_f64 v[14:15], v[130:131], v[16:17]
	;; [unrolled: 1-line block ×3, first 2 shown]
	s_waitcnt vmcnt(4)
	v_add_f64 v[2:3], v[2:3], -v[247:248]
	v_add_f64 v[2:3], v[2:3], v[8:9]
	buffer_load_dword v8, off, s[52:55], 0 offset:160 ; 4-byte Folded Reload
	buffer_load_dword v9, off, s[52:55], 0 offset:164 ; 4-byte Folded Reload
	;; [unrolled: 1-line block ×6, first 2 shown]
	s_waitcnt vmcnt(8)
	v_add_f64 v[180:181], v[180:181], v[174:175]
	s_waitcnt vmcnt(6)
	v_add_f64 v[126:127], v[126:127], -v[186:187]
	v_add_f64 v[138:139], v[120:121], v[180:181]
	v_add_f64 v[180:181], v[22:23], v[0:1]
	;; [unrolled: 1-line block ×3, first 2 shown]
	buffer_load_dword v126, off, s[52:55], 0 offset:240 ; 4-byte Folded Reload
	buffer_load_dword v127, off, s[52:55], 0 offset:244 ; 4-byte Folded Reload
	s_waitcnt vmcnt(6)
	v_add_f64 v[8:9], v[8:9], -v[233:234]
	s_waitcnt vmcnt(4)
	v_add_f64 v[124:125], v[124:125], -v[215:216]
	s_waitcnt vmcnt(2)
	v_add_f64 v[4:5], v[4:5], v[128:129]
	v_add_f64 v[128:129], v[136:137], v[138:139]
	;; [unrolled: 1-line block ×5, first 2 shown]
	buffer_load_dword v16, off, s[52:55], 0 offset:408 ; 4-byte Folded Reload
	buffer_load_dword v17, off, s[52:55], 0 offset:412 ; 4-byte Folded Reload
	;; [unrolled: 1-line block ×4, first 2 shown]
	v_add_f64 v[2:3], v[124:125], v[2:3]
	buffer_load_dword v124, off, s[52:55], 0 offset:320 ; 4-byte Folded Reload
	buffer_load_dword v125, off, s[52:55], 0 offset:324 ; 4-byte Folded Reload
	v_add_f64 v[4:5], v[4:5], v[128:129]
	s_waitcnt vmcnt(6)
	v_add_f64 v[126:127], v[126:127], -v[229:230]
	v_add_f64 v[14:15], v[132:133], v[14:15]
	v_add_f64 v[10:11], v[134:135], v[10:11]
	;; [unrolled: 1-line block ×18, first 2 shown]
	s_waitcnt vmcnt(4)
	v_add_f64 v[16:17], v[16:17], -v[249:250]
	s_waitcnt vmcnt(2)
	v_add_f64 v[20:21], v[20:21], v[130:131]
	s_waitcnt vmcnt(0)
	v_add_f64 v[124:125], v[124:125], -v[6:7]
	buffer_load_dword v6, off, s[52:55], 0 offset:400 ; 4-byte Folded Reload
	buffer_load_dword v7, off, s[52:55], 0 offset:404 ; 4-byte Folded Reload
	v_add_f64 v[4:5], v[20:21], v[4:5]
	v_add_f64 v[8:9], v[124:125], v[8:9]
	s_waitcnt vmcnt(0)
	v_add_f64 v[126:127], v[235:236], v[6:7]
	buffer_load_dword v6, off, s[52:55], 0 offset:328 ; 4-byte Folded Reload
	buffer_load_dword v7, off, s[52:55], 0 offset:332 ; 4-byte Folded Reload
	s_waitcnt vmcnt(0)
	v_add_f64 v[128:129], v[12:13], v[6:7]
	buffer_load_dword v6, off, s[52:55], 0 offset:384 ; 4-byte Folded Reload
	buffer_load_dword v7, off, s[52:55], 0 offset:388 ; 4-byte Folded Reload
	v_add_f64 v[4:5], v[128:129], v[4:5]
	s_waitcnt vmcnt(0)
	v_add_f64 v[20:21], v[6:7], -v[245:246]
	buffer_load_dword v6, off, s[52:55], 0 offset:440 ; 4-byte Folded Reload
	buffer_load_dword v7, off, s[52:55], 0 offset:444 ; 4-byte Folded Reload
	;; [unrolled: 1-line block ×4, first 2 shown]
	s_waitcnt vmcnt(0)
	v_add_f64 v[130:131], v[6:7], -v[12:13]
	buffer_load_dword v6, off, s[52:55], 0 offset:432 ; 4-byte Folded Reload
	buffer_load_dword v7, off, s[52:55], 0 offset:436 ; 4-byte Folded Reload
	;; [unrolled: 1-line block ×4, first 2 shown]
	v_add_f64 v[122:123], v[122:123], v[130:131]
	s_waitcnt vmcnt(0)
	v_add_f64 v[124:125], v[12:13], v[6:7]
	buffer_load_dword v6, off, s[52:55], 0 offset:448 ; 4-byte Folded Reload
	buffer_load_dword v7, off, s[52:55], 0 offset:452 ; 4-byte Folded Reload
	buffer_load_dword v12, off, s[52:55], 0 offset:480 ; 4-byte Folded Reload
	buffer_load_dword v13, off, s[52:55], 0 offset:484 ; 4-byte Folded Reload
	v_add_f64 v[124:125], v[120:121], v[124:125]
	s_waitcnt vmcnt(0)
	v_add_f64 v[132:133], v[12:13], v[6:7]
	buffer_load_dword v6, off, s[52:55], 0 offset:496 ; 4-byte Folded Reload
	buffer_load_dword v7, off, s[52:55], 0 offset:500 ; 4-byte Folded Reload
	v_add_f64 v[120:121], v[120:121], v[132:133]
	v_add_f64 v[102:103], v[134:135], v[120:121]
	s_waitcnt vmcnt(0)
	v_add_f64 v[18:19], v[18:19], -v[6:7]
	buffer_load_dword v6, off, s[52:55], 0 offset:456 ; 4-byte Folded Reload
	buffer_load_dword v7, off, s[52:55], 0 offset:460 ; 4-byte Folded Reload
	;; [unrolled: 1-line block ×4, first 2 shown]
	v_add_f64 v[18:19], v[18:19], v[122:123]
	s_waitcnt vmcnt(0)
	v_add_f64 v[130:131], v[12:13], v[6:7]
	buffer_load_dword v6, off, s[52:55], 0 offset:136 ; 4-byte Folded Reload
	buffer_load_dword v7, off, s[52:55], 0 offset:140 ; 4-byte Folded Reload
	v_add_f64 v[100:101], v[130:131], v[124:125]
	s_waitcnt vmcnt(0)
	v_add_f64 v[132:133], v[203:204], v[6:7]
	buffer_load_dword v6, off, s[52:55], 0 offset:128 ; 4-byte Folded Reload
	buffer_load_dword v7, off, s[52:55], 0 offset:132 ; 4-byte Folded Reload
	v_add_f64 v[102:103], v[132:133], v[102:103]
	s_waitcnt vmcnt(0)
	v_add_f64 v[136:137], v[6:7], -v[251:252]
	buffer_load_dword v6, off, s[52:55], 0 offset:120 ; 4-byte Folded Reload
	buffer_load_dword v7, off, s[52:55], 0 offset:124 ; 4-byte Folded Reload
	v_add_f64 v[18:19], v[136:137], v[18:19]
	s_waitcnt vmcnt(0)
	v_add_f64 v[122:123], v[237:238], v[6:7]
	buffer_load_dword v6, off, s[52:55], 0 offset:216 ; 4-byte Folded Reload
	buffer_load_dword v7, off, s[52:55], 0 offset:220 ; 4-byte Folded Reload
	v_add_f64 v[100:101], v[122:123], v[100:101]
	s_waitcnt vmcnt(0)
	v_add_f64 v[96:97], v[96:97], v[6:7]
	buffer_load_dword v6, off, s[52:55], 0 offset:208 ; 4-byte Folded Reload
	buffer_load_dword v7, off, s[52:55], 0 offset:212 ; 4-byte Folded Reload
	v_add_f64 v[96:97], v[96:97], v[102:103]
	v_add_f64 v[102:103], v[16:17], v[2:3]
	s_waitcnt vmcnt(0)
	v_add_f64 v[120:121], v[6:7], -v[223:224]
	buffer_load_dword v6, off, s[52:55], 0 offset:200 ; 4-byte Folded Reload
	buffer_load_dword v7, off, s[52:55], 0 offset:204 ; 4-byte Folded Reload
	;; [unrolled: 1-line block ×4, first 2 shown]
	v_add_f64 v[18:19], v[120:121], v[18:19]
	s_waitcnt vmcnt(2)
	v_add_f64 v[6:7], v[194:195], v[6:7]
	s_waitcnt vmcnt(0)
	v_add_f64 v[104:105], v[196:197], v[12:13]
	buffer_load_dword v12, off, s[52:55], 0 offset:288 ; 4-byte Folded Reload
	buffer_load_dword v13, off, s[52:55], 0 offset:292 ; 4-byte Folded Reload
	v_add_f64 v[6:7], v[6:7], v[100:101]
	v_add_f64 v[96:97], v[104:105], v[96:97]
	s_waitcnt vmcnt(0)
	v_add_f64 v[106:107], v[12:13], -v[225:226]
	buffer_load_dword v12, off, s[52:55], 0 offset:280 ; 4-byte Folded Reload
	buffer_load_dword v13, off, s[52:55], 0 offset:284 ; 4-byte Folded Reload
	v_add_f64 v[18:19], v[106:107], v[18:19]
	v_add_f64 v[106:107], v[20:21], v[8:9]
	s_waitcnt vmcnt(0)
	v_add_f64 v[120:121], v[184:185], v[12:13]
	buffer_load_dword v12, off, s[52:55], 0 offset:376 ; 4-byte Folded Reload
	buffer_load_dword v13, off, s[52:55], 0 offset:380 ; 4-byte Folded Reload
	v_add_f64 v[6:7], v[120:121], v[6:7]
	s_waitcnt vmcnt(0)
	v_add_f64 v[100:101], v[172:173], v[12:13]
	buffer_load_dword v12, off, s[52:55], 0 offset:368 ; 4-byte Folded Reload
	buffer_load_dword v13, off, s[52:55], 0 offset:372 ; 4-byte Folded Reload
	v_add_f64 v[104:105], v[100:101], v[96:97]
	v_add_f64 v[100:101], v[126:127], v[4:5]
	s_waitcnt vmcnt(0)
	v_add_f64 v[108:109], v[12:13], -v[253:254]
	buffer_load_dword v12, off, s[52:55], 0 offset:360 ; 4-byte Folded Reload
	buffer_load_dword v13, off, s[52:55], 0 offset:364 ; 4-byte Folded Reload
	;; [unrolled: 1-line block ×4, first 2 shown]
	v_add_f64 v[110:111], v[108:109], v[18:19]
	s_waitcnt vmcnt(2)
	v_add_f64 v[122:123], v[213:214], v[12:13]
	s_waitcnt vmcnt(0)
	v_add_f64 v[96:97], v[198:199], v[0:1]
	buffer_load_dword v0, off, s[52:55], 0 offset:28 ; 4-byte Folded Reload
	v_add_f64 v[108:109], v[122:123], v[6:7]
	s_waitcnt vmcnt(0)
	v_lshlrev_b32_e32 v0, 4, v0
	ds_write_b128 v0, v[112:115]
	ds_write_b128 v0, v[108:111] offset:16
	ds_write_b128 v0, v[104:107] offset:32
	;; [unrolled: 1-line block ×6, first 2 shown]
	buffer_load_dword v1, off, s[52:55], 0 offset:416 ; 4-byte Folded Reload
	buffer_load_dword v2, off, s[52:55], 0 offset:420 ; 4-byte Folded Reload
	;; [unrolled: 1-line block ×4, first 2 shown]
	s_waitcnt vmcnt(0)
	ds_write_b128 v0, v[1:4] offset:112
	ds_write_b128 v0, v[168:171] offset:128
	;; [unrolled: 1-line block ×6, first 2 shown]
.LBB0_17:
	s_or_b64 exec, exec, s[46:47]
	s_waitcnt lgkmcnt(0)
	s_barrier
	ds_read_b128 v[96:99], v255 offset:5824
	ds_read_b128 v[100:103], v255 offset:11648
	;; [unrolled: 1-line block ×4, first 2 shown]
	ds_read_b128 v[112:115], v255
	ds_read_b128 v[116:119], v255 offset:2912
	ds_read_b128 v[120:123], v255 offset:17472
	;; [unrolled: 1-line block ×3, first 2 shown]
	s_waitcnt lgkmcnt(7)
	v_mul_f64 v[0:1], v[46:47], v[98:99]
	v_mul_f64 v[2:3], v[46:47], v[96:97]
	s_waitcnt lgkmcnt(6)
	v_mul_f64 v[4:5], v[42:43], v[102:103]
	v_mul_f64 v[6:7], v[42:43], v[100:101]
	;; [unrolled: 3-line block ×3, first 2 shown]
	v_mul_f64 v[12:13], v[38:39], v[106:107]
	v_mul_f64 v[14:15], v[38:39], v[104:105]
	;; [unrolled: 1-line block ×4, first 2 shown]
	s_waitcnt lgkmcnt(0)
	v_mul_f64 v[20:21], v[26:27], v[126:127]
	v_mul_f64 v[22:23], v[26:27], v[124:125]
	v_fma_f64 v[0:1], v[44:45], v[96:97], v[0:1]
	v_fma_f64 v[2:3], v[44:45], v[98:99], -v[2:3]
	v_fma_f64 v[4:5], v[40:41], v[100:101], v[4:5]
	v_fma_f64 v[6:7], v[40:41], v[102:103], -v[6:7]
	;; [unrolled: 2-line block ×6, first 2 shown]
	v_add_f64 v[4:5], v[112:113], -v[4:5]
	v_add_f64 v[6:7], v[114:115], -v[6:7]
	;; [unrolled: 1-line block ×8, first 2 shown]
	v_fma_f64 v[40:41], v[112:113], 2.0, -v[4:5]
	v_fma_f64 v[42:43], v[114:115], 2.0, -v[6:7]
	;; [unrolled: 1-line block ×8, first 2 shown]
	v_add_f64 v[32:33], v[4:5], v[10:11]
	v_add_f64 v[34:35], v[6:7], -v[8:9]
	v_add_f64 v[28:29], v[40:41], -v[0:1]
	;; [unrolled: 1-line block ×3, first 2 shown]
	v_add_f64 v[24:25], v[16:17], v[22:23]
	v_add_f64 v[26:27], v[18:19], -v[20:21]
	v_add_f64 v[36:37], v[96:97], -v[12:13]
	;; [unrolled: 1-line block ×3, first 2 shown]
	v_fma_f64 v[44:45], v[4:5], 2.0, -v[32:33]
	v_fma_f64 v[46:47], v[6:7], 2.0, -v[34:35]
	;; [unrolled: 1-line block ×8, first 2 shown]
	s_barrier
	ds_write_b128 v222, v[40:43]
	ds_write_b128 v222, v[44:47] offset:208
	ds_write_b128 v222, v[28:31] offset:416
	;; [unrolled: 1-line block ×3, first 2 shown]
	ds_write_b128 v221, v[96:99]
	ds_write_b128 v221, v[100:103] offset:208
	ds_write_b128 v221, v[36:39] offset:416
	;; [unrolled: 1-line block ×3, first 2 shown]
	s_waitcnt lgkmcnt(0)
	s_barrier
	ds_read_b128 v[28:31], v255
	ds_read_b128 v[104:107], v255 offset:3328
	ds_read_b128 v[100:103], v255 offset:6656
	;; [unrolled: 1-line block ×6, first 2 shown]
	s_and_saveexec_b64 s[2:3], s[0:1]
	s_cbranch_execz .LBB0_19
; %bb.18:
	ds_read_b128 v[24:27], v255 offset:2912
	ds_read_b128 v[168:171], v255 offset:6240
	;; [unrolled: 1-line block ×7, first 2 shown]
	s_waitcnt lgkmcnt(0)
	buffer_store_dword v0, off, s[52:55], 0 offset:12 ; 4-byte Folded Spill
	s_nop 0
	buffer_store_dword v1, off, s[52:55], 0 offset:16 ; 4-byte Folded Spill
	buffer_store_dword v2, off, s[52:55], 0 offset:20 ; 4-byte Folded Spill
	;; [unrolled: 1-line block ×3, first 2 shown]
.LBB0_19:
	s_or_b64 exec, exec, s[2:3]
	s_waitcnt lgkmcnt(5)
	v_mul_f64 v[0:1], v[70:71], v[106:107]
	v_mul_f64 v[2:3], v[70:71], v[104:105]
	s_waitcnt lgkmcnt(4)
	v_mul_f64 v[4:5], v[66:67], v[102:103]
	v_mul_f64 v[6:7], v[66:67], v[100:101]
	;; [unrolled: 3-line block ×3, first 2 shown]
	v_mul_f64 v[16:17], v[58:59], v[42:43]
	v_mul_f64 v[18:19], v[58:59], v[40:41]
	v_fma_f64 v[0:1], v[68:69], v[104:105], v[0:1]
	v_fma_f64 v[2:3], v[68:69], v[106:107], -v[2:3]
	v_fma_f64 v[4:5], v[64:65], v[100:101], v[4:5]
	v_fma_f64 v[6:7], v[64:65], v[102:103], -v[6:7]
	v_mul_f64 v[12:13], v[54:55], v[38:39]
	v_mul_f64 v[14:15], v[54:55], v[36:37]
	;; [unrolled: 1-line block ×4, first 2 shown]
	v_fma_f64 v[8:9], v[60:61], v[44:45], v[8:9]
	v_fma_f64 v[10:11], v[60:61], v[46:47], -v[10:11]
	v_fma_f64 v[16:17], v[56:57], v[40:41], v[16:17]
	v_fma_f64 v[18:19], v[56:57], v[42:43], -v[18:19]
	;; [unrolled: 2-line block ×4, first 2 shown]
	v_add_f64 v[32:33], v[0:1], v[8:9]
	v_add_f64 v[34:35], v[2:3], v[10:11]
	v_add_f64 v[0:1], v[0:1], -v[8:9]
	v_add_f64 v[2:3], v[2:3], -v[10:11]
	v_add_f64 v[8:9], v[4:5], v[16:17]
	v_add_f64 v[10:11], v[6:7], v[18:19]
	v_add_f64 v[4:5], v[4:5], -v[16:17]
	v_add_f64 v[6:7], v[6:7], -v[18:19]
	;; [unrolled: 4-line block ×4, first 2 shown]
	v_add_f64 v[32:33], v[32:33], -v[16:17]
	v_add_f64 v[34:35], v[34:35], -v[18:19]
	;; [unrolled: 1-line block ×4, first 2 shown]
	v_add_f64 v[40:41], v[12:13], v[4:5]
	v_add_f64 v[42:43], v[14:15], v[6:7]
	v_add_f64 v[44:45], v[12:13], -v[4:5]
	v_add_f64 v[46:47], v[14:15], -v[6:7]
	v_add_f64 v[16:17], v[16:17], v[20:21]
	v_add_f64 v[18:19], v[18:19], v[22:23]
	v_add_f64 v[4:5], v[4:5], -v[0:1]
	v_add_f64 v[6:7], v[6:7], -v[2:3]
	s_mov_b32 s16, 0x37e14327
	s_mov_b32 s8, 0x36b3c0b5
	;; [unrolled: 1-line block ×7, first 2 shown]
	v_add_f64 v[12:13], v[0:1], -v[12:13]
	v_add_f64 v[14:15], v[2:3], -v[14:15]
	v_add_f64 v[0:1], v[40:41], v[0:1]
	v_add_f64 v[2:3], v[42:43], v[2:3]
	;; [unrolled: 1-line block ×4, first 2 shown]
	v_mul_f64 v[20:21], v[32:33], s[16:17]
	v_mul_f64 v[22:23], v[34:35], s[16:17]
	;; [unrolled: 1-line block ×6, first 2 shown]
	s_mov_b32 s3, 0xbfebfeb5
	v_mul_f64 v[44:45], v[4:5], s[2:3]
	v_mul_f64 v[46:47], v[6:7], s[2:3]
	s_mov_b32 s26, 0xaaaaaaaa
	s_mov_b32 s10, 0x5476071b
	;; [unrolled: 1-line block ×8, first 2 shown]
	v_fma_f64 v[16:17], v[16:17], s[26:27], v[28:29]
	v_fma_f64 v[18:19], v[18:19], s[26:27], v[30:31]
	;; [unrolled: 1-line block ×4, first 2 shown]
	v_fma_f64 v[32:33], v[36:37], s[10:11], -v[32:33]
	v_fma_f64 v[34:35], v[38:39], s[10:11], -v[34:35]
	;; [unrolled: 1-line block ×4, first 2 shown]
	v_fma_f64 v[36:37], v[12:13], s[28:29], v[40:41]
	v_fma_f64 v[38:39], v[14:15], s[28:29], v[42:43]
	s_mov_b32 s25, 0x3fd5d0dc
	s_mov_b32 s24, s28
	v_fma_f64 v[12:13], v[12:13], s[24:25], -v[44:45]
	v_fma_f64 v[14:15], v[14:15], s[24:25], -v[46:47]
	;; [unrolled: 1-line block ×4, first 2 shown]
	s_mov_b32 s22, 0x37c3f68c
	s_mov_b32 s23, 0xbfdc38aa
	v_add_f64 v[8:9], v[8:9], v[16:17]
	v_add_f64 v[10:11], v[10:11], v[18:19]
	;; [unrolled: 1-line block ×6, first 2 shown]
	v_fma_f64 v[20:21], v[2:3], s[22:23], v[38:39]
	v_fma_f64 v[22:23], v[0:1], s[22:23], v[36:37]
	;; [unrolled: 1-line block ×6, first 2 shown]
	s_waitcnt vmcnt(0)
	s_barrier
	v_add_f64 v[32:33], v[20:21], v[8:9]
	v_add_f64 v[34:35], v[10:11], -v[22:23]
	v_add_f64 v[36:37], v[14:15], v[16:17]
	v_add_f64 v[38:39], v[18:19], -v[12:13]
	v_add_f64 v[40:41], v[44:45], -v[2:3]
	v_add_f64 v[42:43], v[0:1], v[46:47]
	v_add_f64 v[44:45], v[2:3], v[44:45]
	v_add_f64 v[46:47], v[46:47], -v[0:1]
	v_add_f64 v[48:49], v[16:17], -v[14:15]
	v_add_f64 v[50:51], v[12:13], v[18:19]
	v_add_f64 v[52:53], v[8:9], -v[20:21]
	v_add_f64 v[54:55], v[22:23], v[10:11]
	ds_write_b128 v200, v[28:31]
	ds_write_b128 v200, v[32:35] offset:832
	ds_write_b128 v200, v[36:39] offset:1664
	;; [unrolled: 1-line block ×6, first 2 shown]
	s_and_saveexec_b64 s[30:31], s[0:1]
	s_cbranch_execz .LBB0_21
; %bb.20:
	buffer_load_dword v28, off, s[52:55], 0 offset:32 ; 4-byte Folded Reload
	buffer_load_dword v29, off, s[52:55], 0 offset:36 ; 4-byte Folded Reload
	;; [unrolled: 1-line block ×20, first 2 shown]
	v_mul_f64 v[14:15], v[211:212], v[164:165]
	v_mul_f64 v[16:17], v[211:212], v[166:167]
	v_fma_f64 v[14:15], v[209:210], v[166:167], -v[14:15]
	v_fma_f64 v[16:17], v[209:210], v[164:165], v[16:17]
	s_waitcnt vmcnt(16)
	v_mul_f64 v[0:1], v[30:31], v[158:159]
	s_waitcnt vmcnt(12)
	v_mul_f64 v[2:3], v[38:39], v[162:163]
	;; [unrolled: 2-line block ×4, first 2 shown]
	v_mul_f64 v[8:9], v[42:43], v[46:47]
	buffer_load_dword v42, off, s[52:55], 0 offset:96 ; 4-byte Folded Reload
	buffer_load_dword v43, off, s[52:55], 0 offset:100 ; 4-byte Folded Reload
	;; [unrolled: 1-line block ×4, first 2 shown]
	v_mul_f64 v[4:5], v[34:35], v[170:171]
	v_mul_f64 v[20:21], v[38:39], v[160:161]
	v_fma_f64 v[0:1], v[28:29], v[156:157], v[0:1]
	v_fma_f64 v[2:3], v[36:37], v[160:161], v[2:3]
	v_fma_f64 v[10:11], v[32:33], v[170:171], -v[10:11]
	v_mul_f64 v[22:23], v[30:31], v[156:157]
	v_fma_f64 v[8:9], v[40:41], v[48:49], -v[8:9]
	v_fma_f64 v[6:7], v[40:41], v[46:47], v[6:7]
	v_fma_f64 v[4:5], v[32:33], v[168:169], v[4:5]
	v_fma_f64 v[20:21], v[36:37], v[162:163], -v[20:21]
	v_add_f64 v[32:33], v[0:1], -v[2:3]
	v_add_f64 v[46:47], v[2:3], v[0:1]
	v_fma_f64 v[22:23], v[28:29], v[158:159], -v[22:23]
	v_add_f64 v[28:29], v[10:11], v[8:9]
	v_add_f64 v[8:9], v[10:11], -v[8:9]
	v_add_f64 v[40:41], v[4:5], -v[6:7]
	v_add_f64 v[4:5], v[4:5], v[6:7]
	v_add_f64 v[36:37], v[20:21], v[22:23]
	v_add_f64 v[20:21], v[22:23], -v[20:21]
	v_add_f64 v[10:11], v[4:5], -v[46:47]
	;; [unrolled: 1-line block ×3, first 2 shown]
	v_mul_f64 v[10:11], v[10:11], s[16:17]
	v_mul_f64 v[48:49], v[6:7], s[16:17]
	s_waitcnt vmcnt(0)
	v_mul_f64 v[12:13], v[44:45], v[152:153]
	v_mul_f64 v[18:19], v[44:45], v[154:155]
	v_fma_f64 v[12:13], v[42:43], v[154:155], -v[12:13]
	v_fma_f64 v[18:19], v[42:43], v[152:153], v[18:19]
	v_add_f64 v[30:31], v[14:15], v[12:13]
	v_add_f64 v[34:35], v[16:17], -v[18:19]
	v_add_f64 v[16:17], v[16:17], v[18:19]
	v_add_f64 v[12:13], v[14:15], -v[12:13]
	;; [unrolled: 2-line block ×4, first 2 shown]
	v_add_f64 v[14:15], v[34:35], -v[40:41]
	v_add_f64 v[22:23], v[46:47], -v[16:17]
	;; [unrolled: 1-line block ×4, first 2 shown]
	v_add_f64 v[18:19], v[36:37], v[38:39]
	v_add_f64 v[38:39], v[40:41], -v[32:33]
	v_mul_f64 v[42:43], v[42:43], s[18:19]
	v_add_f64 v[32:33], v[32:33], v[34:35]
	v_mul_f64 v[30:31], v[6:7], s[8:9]
	v_add_f64 v[2:3], v[26:27], v[18:19]
	v_fma_f64 v[36:37], v[38:39], s[28:29], v[42:43]
	v_add_f64 v[26:27], v[32:33], v[40:41]
	v_add_f64 v[32:33], v[46:47], v[44:45]
	v_fma_f64 v[44:45], v[6:7], s[8:9], v[48:49]
	v_add_f64 v[46:47], v[12:13], -v[8:9]
	v_mul_f64 v[40:41], v[14:15], s[2:3]
	v_fma_f64 v[18:19], v[18:19], s[26:27], v[2:3]
	v_fma_f64 v[14:15], v[14:15], s[2:3], -v[42:43]
	v_add_f64 v[0:1], v[24:25], v[32:33]
	v_fma_f64 v[24:25], v[26:27], s[22:23], v[36:37]
	v_add_f64 v[36:37], v[20:21], -v[12:13]
	v_add_f64 v[12:13], v[20:21], v[12:13]
	v_add_f64 v[34:35], v[44:45], v[18:19]
	v_add_f64 v[44:45], v[8:9], -v[20:21]
	v_mul_f64 v[16:17], v[46:47], s[2:3]
	v_mul_f64 v[20:21], v[22:23], s[8:9]
	v_fma_f64 v[32:33], v[32:33], s[26:27], v[0:1]
	v_fma_f64 v[22:23], v[22:23], s[8:9], v[10:11]
	v_mul_f64 v[36:37], v[36:37], s[18:19]
	v_fma_f64 v[38:39], v[38:39], s[24:25], -v[40:41]
	v_fma_f64 v[40:41], v[28:29], s[20:21], -v[48:49]
	v_add_f64 v[8:9], v[12:13], v[8:9]
	v_fma_f64 v[10:11], v[4:5], s[20:21], -v[10:11]
	v_fma_f64 v[16:17], v[44:45], s[24:25], -v[16:17]
	;; [unrolled: 1-line block ×4, first 2 shown]
	v_fma_f64 v[48:49], v[44:45], s[28:29], v[36:37]
	v_fma_f64 v[20:21], v[46:47], s[2:3], -v[36:37]
	v_fma_f64 v[28:29], v[26:27], s[22:23], v[38:39]
	v_add_f64 v[36:37], v[22:23], v[32:33]
	v_add_f64 v[30:31], v[40:41], v[18:19]
	v_add_f64 v[40:41], v[10:11], v[32:33]
	v_fma_f64 v[42:43], v[8:9], s[22:23], v[16:17]
	v_add_f64 v[12:13], v[12:13], v[18:19]
	v_fma_f64 v[38:39], v[8:9], s[22:23], v[48:49]
	v_fma_f64 v[18:19], v[26:27], s[22:23], v[14:15]
	v_add_f64 v[4:5], v[4:5], v[32:33]
	v_fma_f64 v[8:9], v[8:9], s[22:23], v[20:21]
	v_add_f64 v[6:7], v[24:25], v[34:35]
	v_add_f64 v[26:27], v[34:35], -v[24:25]
	v_add_f64 v[22:23], v[30:31], -v[28:29]
	v_add_f64 v[20:21], v[42:43], v[40:41]
	v_add_f64 v[24:25], v[38:39], v[36:37]
	v_add_f64 v[14:15], v[12:13], -v[18:19]
	v_add_f64 v[18:19], v[18:19], v[12:13]
	v_add_f64 v[16:17], v[4:5], -v[8:9]
	v_add_f64 v[12:13], v[8:9], v[4:5]
	v_add_f64 v[10:11], v[28:29], v[30:31]
	v_add_f64 v[8:9], v[40:41], -v[42:43]
	v_add_f64 v[4:5], v[36:37], -v[38:39]
	ds_write_b128 v227, v[0:3] offset:17472
	ds_write_b128 v227, v[24:27] offset:18304
	;; [unrolled: 1-line block ×7, first 2 shown]
.LBB0_21:
	s_or_b64 exec, exec, s[30:31]
	s_waitcnt lgkmcnt(0)
	s_barrier
	ds_read_b128 v[0:3], v255
	ds_read_b128 v[4:7], v255 offset:2912
	ds_read_b128 v[8:11], v255 offset:11648
	;; [unrolled: 1-line block ×7, first 2 shown]
	s_waitcnt lgkmcnt(5)
	v_mul_f64 v[32:33], v[74:75], v[10:11]
	v_mul_f64 v[34:35], v[74:75], v[8:9]
	s_waitcnt lgkmcnt(4)
	v_mul_f64 v[36:37], v[78:79], v[14:15]
	v_mul_f64 v[38:39], v[78:79], v[12:13]
	;; [unrolled: 3-line block ×4, first 2 shown]
	v_fma_f64 v[8:9], v[72:73], v[8:9], v[32:33]
	v_fma_f64 v[10:11], v[72:73], v[10:11], -v[34:35]
	v_fma_f64 v[12:13], v[76:77], v[12:13], v[36:37]
	v_fma_f64 v[14:15], v[76:77], v[14:15], -v[38:39]
	;; [unrolled: 2-line block ×4, first 2 shown]
	v_add_f64 v[8:9], v[0:1], -v[8:9]
	v_add_f64 v[10:11], v[2:3], -v[10:11]
	;; [unrolled: 1-line block ×8, first 2 shown]
	v_fma_f64 v[0:1], v[0:1], 2.0, -v[8:9]
	v_fma_f64 v[2:3], v[2:3], 2.0, -v[10:11]
	;; [unrolled: 1-line block ×8, first 2 shown]
	s_barrier
	ds_write_b128 v255, v[0:3]
	ds_write_b128 v255, v[8:11] offset:5824
	ds_write_b128 v255, v[4:7] offset:2912
	;; [unrolled: 1-line block ×7, first 2 shown]
	s_waitcnt lgkmcnt(0)
	s_barrier
	ds_read_b128 v[0:3], v255
	ds_read_b128 v[4:7], v255 offset:2912
	ds_read_b128 v[8:11], v255 offset:11648
	;; [unrolled: 1-line block ×7, first 2 shown]
	s_waitcnt lgkmcnt(5)
	v_mul_f64 v[32:33], v[86:87], v[10:11]
	v_mul_f64 v[34:35], v[86:87], v[8:9]
	s_waitcnt lgkmcnt(4)
	v_mul_f64 v[36:37], v[82:83], v[14:15]
	v_mul_f64 v[38:39], v[82:83], v[12:13]
	;; [unrolled: 3-line block ×4, first 2 shown]
	v_fma_f64 v[8:9], v[84:85], v[8:9], v[32:33]
	v_fma_f64 v[10:11], v[84:85], v[10:11], -v[34:35]
	v_fma_f64 v[12:13], v[80:81], v[12:13], v[36:37]
	v_fma_f64 v[14:15], v[80:81], v[14:15], -v[38:39]
	;; [unrolled: 2-line block ×4, first 2 shown]
	v_add_f64 v[8:9], v[0:1], -v[8:9]
	v_add_f64 v[10:11], v[2:3], -v[10:11]
	;; [unrolled: 1-line block ×8, first 2 shown]
	v_fma_f64 v[0:1], v[0:1], 2.0, -v[8:9]
	v_fma_f64 v[2:3], v[2:3], 2.0, -v[10:11]
	;; [unrolled: 1-line block ×8, first 2 shown]
	ds_write_b128 v255, v[0:3]
	ds_write_b128 v255, v[8:11] offset:11648
	ds_write_b128 v255, v[4:7] offset:2912
	;; [unrolled: 1-line block ×7, first 2 shown]
	s_waitcnt lgkmcnt(0)
	s_barrier
	s_and_b64 exec, exec, vcc
	s_cbranch_execz .LBB0_23
; %bb.22:
	v_mov_b32_e32 v1, s15
	v_add_co_u32_e32 v0, vcc, s14, v255
	v_addc_co_u32_e32 v1, vcc, 0, v1, vcc
	s_movk_i32 s0, 0x1000
	v_add_co_u32_e32 v26, vcc, s0, v0
	v_addc_co_u32_e32 v27, vcc, 0, v1, vcc
	global_load_dwordx4 v[2:5], v255, s[14:15]
	global_load_dwordx4 v[6:9], v255, s[14:15] offset:1792
	global_load_dwordx4 v[10:13], v255, s[14:15] offset:3584
	global_load_dwordx4 v[14:17], v[26:27], off offset:1280
	buffer_load_dword v18, off, s[52:55], 0 offset:4 ; 4-byte Folded Reload
	buffer_load_dword v19, off, s[52:55], 0 offset:8 ; 4-byte Folded Reload
	buffer_load_dword v66, off, s[52:55], 0 ; 4-byte Folded Reload
	s_movk_i32 s8, 0x2000
	v_add_co_u32_e32 v62, vcc, s8, v0
	v_addc_co_u32_e32 v63, vcc, 0, v1, vcc
	s_movk_i32 s9, 0x3000
	v_add_co_u32_e32 v74, vcc, s9, v0
	v_addc_co_u32_e32 v75, vcc, 0, v1, vcc
	v_mov_b32_e32 v79, s13
	s_waitcnt vmcnt(2)
	v_mov_b32_e32 v65, v18
	s_waitcnt vmcnt(1)
	ds_read_b128 v[18:21], v255
	ds_read_b128 v[22:25], v255 offset:1792
	global_load_dwordx4 v[26:29], v[26:27], off offset:3072
	ds_read_b128 v[30:33], v255 offset:3584
	ds_read_b128 v[34:37], v255 offset:5376
	;; [unrolled: 1-line block ×4, first 2 shown]
	global_load_dwordx4 v[50:53], v[62:63], off offset:768
	s_waitcnt vmcnt(2)
	v_or_b32_e32 v82, 0x380, v66
	v_lshlrev_b32_e32 v64, 4, v82
	ds_read_b128 v[46:49], v255 offset:21504
	global_load_dwordx4 v[54:57], v64, s[14:15]
	global_load_dwordx4 v[58:61], v[62:63], off offset:2560
	v_mad_u64_u32 v[70:71], s[0:1], s6, v65, 0
	v_mad_u64_u32 v[72:73], s[2:3], s4, v66, 0
	s_mul_i32 s3, s5, 0x700
	s_mul_hi_u32 s6, s4, 0x700
	v_mov_b32_e32 v62, v71
	v_mov_b32_e32 v63, v73
	s_add_i32 s3, s6, s3
	v_mad_u64_u32 v[76:77], s[6:7], s7, v65, v[62:63]
	v_mad_u64_u32 v[77:78], s[6:7], s5, v66, v[63:64]
	global_load_dwordx4 v[62:65], v[74:75], off offset:256
	global_load_dwordx4 v[66:69], v[74:75], off offset:3840
	v_mov_b32_e32 v71, v76
	v_lshlrev_b64 v[70:71], 4, v[70:71]
	v_mov_b32_e32 v73, v77
	s_waitcnt lgkmcnt(6)
	v_mul_f64 v[74:75], v[20:21], v[4:5]
	v_mul_f64 v[4:5], v[18:19], v[4:5]
	v_lshlrev_b64 v[72:73], 4, v[72:73]
	v_add_co_u32_e32 v84, vcc, s12, v70
	s_waitcnt lgkmcnt(5)
	v_mul_f64 v[76:77], v[24:25], v[8:9]
	v_mul_f64 v[8:9], v[22:23], v[8:9]
	v_addc_co_u32_e32 v85, vcc, v79, v71, vcc
	s_waitcnt lgkmcnt(4)
	v_mul_f64 v[78:79], v[32:33], v[12:13]
	v_mul_f64 v[12:13], v[30:31], v[12:13]
	v_add_co_u32_e32 v70, vcc, v84, v72
	s_mul_i32 s2, s4, 0x700
	v_addc_co_u32_e32 v71, vcc, v85, v73, vcc
	v_mov_b32_e32 v80, s3
	v_add_co_u32_e32 v72, vcc, s2, v70
	v_addc_co_u32_e32 v73, vcc, v71, v80, vcc
	s_waitcnt lgkmcnt(3)
	v_mul_f64 v[80:81], v[36:37], v[16:17]
	v_mul_f64 v[16:17], v[34:35], v[16:17]
	v_fma_f64 v[18:19], v[18:19], v[2:3], v[74:75]
	v_fma_f64 v[4:5], v[2:3], v[20:21], -v[4:5]
	v_fma_f64 v[20:21], v[22:23], v[6:7], v[76:77]
	v_fma_f64 v[8:9], v[6:7], v[24:25], -v[8:9]
	;; [unrolled: 2-line block ×3, first 2 shown]
	s_mov_b32 s0, 0x16816817
	v_fma_f64 v[24:25], v[34:35], v[14:15], v[80:81]
	v_fma_f64 v[16:17], v[14:15], v[36:37], -v[16:17]
	s_mov_b32 s1, 0x3f468168
	v_mul_f64 v[2:3], v[18:19], s[0:1]
	v_mul_f64 v[4:5], v[4:5], s[0:1]
	;; [unrolled: 1-line block ×8, first 2 shown]
	v_mov_b32_e32 v83, s3
	v_add_co_u32_e32 v18, vcc, s2, v72
	v_addc_co_u32_e32 v19, vcc, v73, v83, vcc
	global_store_dwordx4 v[70:71], v[2:5], off
	global_store_dwordx4 v[72:73], v[6:9], off
	;; [unrolled: 1-line block ×3, first 2 shown]
	v_mov_b32_e32 v6, s3
	s_movk_i32 s6, 0x4000
	ds_read_b128 v[10:13], v255 offset:10752
	v_mov_b32_e32 v34, s3
	s_waitcnt vmcnt(8) lgkmcnt(3)
	v_mul_f64 v[2:3], v[40:41], v[28:29]
	v_mul_f64 v[4:5], v[38:39], v[28:29]
	v_add_co_u32_e32 v28, vcc, s2, v18
	v_addc_co_u32_e32 v29, vcc, v19, v6, vcc
	global_store_dwordx4 v[28:29], v[14:17], off
	s_waitcnt vmcnt(8) lgkmcnt(2)
	v_mul_f64 v[22:23], v[44:45], v[52:53]
	v_add_co_u32_e32 v14, vcc, s6, v0
	v_addc_co_u32_e32 v15, vcc, 0, v1, vcc
	v_fma_f64 v[6:7], v[38:39], v[26:27], v[2:3]
	v_fma_f64 v[8:9], v[26:27], v[40:41], -v[4:5]
	global_load_dwordx4 v[2:5], v[14:15], off offset:1536
	s_movk_i32 s6, 0x5000
	v_add_co_u32_e32 v0, vcc, s6, v0
	v_addc_co_u32_e32 v1, vcc, 0, v1, vcc
	global_load_dwordx4 v[18:21], v[0:1], off offset:1024
	v_mul_f64 v[24:25], v[42:43], v[52:53]
	global_load_dwordx4 v[14:17], v[14:15], off offset:3328
	v_mul_f64 v[6:7], v[6:7], s[0:1]
	v_mul_f64 v[8:9], v[8:9], s[0:1]
	v_fma_f64 v[0:1], v[42:43], v[50:51], v[22:23]
	v_add_co_u32_e32 v28, vcc, s2, v28
	v_addc_co_u32_e32 v29, vcc, v29, v34, vcc
	v_fma_f64 v[26:27], v[50:51], v[44:45], -v[24:25]
	ds_read_b128 v[22:25], v255 offset:12544
	s_waitcnt vmcnt(9) lgkmcnt(1)
	v_mul_f64 v[30:31], v[12:13], v[60:61]
	v_mul_f64 v[32:33], v[10:11], v[60:61]
	global_store_dwordx4 v[28:29], v[6:9], off
	v_add_co_u32_e32 v28, vcc, s2, v28
	v_mul_f64 v[6:7], v[0:1], s[0:1]
	v_mul_f64 v[8:9], v[26:27], s[0:1]
	s_waitcnt vmcnt(9) lgkmcnt(0)
	v_mul_f64 v[26:27], v[22:23], v[64:65]
	v_fma_f64 v[0:1], v[10:11], v[58:59], v[30:31]
	v_fma_f64 v[10:11], v[58:59], v[12:13], -v[32:33]
	v_mul_f64 v[12:13], v[24:25], v[64:65]
	v_addc_co_u32_e32 v29, vcc, v29, v34, vcc
	v_mad_u64_u32 v[30:31], s[6:7], s4, v82, 0
	global_store_dwordx4 v[28:29], v[6:9], off
	v_mov_b32_e32 v32, s3
	v_mul_f64 v[6:7], v[0:1], s[0:1]
	v_mul_f64 v[8:9], v[10:11], s[0:1]
	v_fma_f64 v[0:1], v[22:23], v[62:63], v[12:13]
	v_mov_b32_e32 v10, s3
	v_fma_f64 v[12:13], v[62:63], v[24:25], -v[26:27]
	v_add_co_u32_e32 v26, vcc, s2, v28
	v_addc_co_u32_e32 v27, vcc, v29, v10, vcc
	global_store_dwordx4 v[26:27], v[6:9], off
	ds_read_b128 v[6:9], v255 offset:14336
	ds_read_b128 v[22:25], v255 offset:16128
	v_mul_f64 v[10:11], v[0:1], s[0:1]
	v_mul_f64 v[12:13], v[12:13], s[0:1]
	v_add_co_u32_e32 v26, vcc, s2, v26
	s_waitcnt lgkmcnt(1)
	v_mul_f64 v[0:1], v[8:9], v[56:57]
	v_mul_f64 v[28:29], v[6:7], v[56:57]
	v_addc_co_u32_e32 v27, vcc, v27, v32, vcc
	s_waitcnt vmcnt(10) lgkmcnt(0)
	v_mul_f64 v[32:33], v[22:23], v[68:69]
	global_store_dwordx4 v[26:27], v[10:13], off
	ds_read_b128 v[10:13], v255 offset:17920
	v_fma_f64 v[0:1], v[6:7], v[54:55], v[0:1]
	v_fma_f64 v[8:9], v[54:55], v[8:9], -v[28:29]
	v_mov_b32_e32 v6, v31
	v_mad_u64_u32 v[34:35], s[6:7], s5, v82, v[6:7]
	v_mul_f64 v[28:29], v[24:25], v[68:69]
	v_fma_f64 v[24:25], v[66:67], v[24:25], -v[32:33]
	v_mov_b32_e32 v31, v34
	v_mul_f64 v[6:7], v[0:1], s[0:1]
	v_mul_f64 v[8:9], v[8:9], s[0:1]
	v_lshlrev_b64 v[0:1], 4, v[30:31]
	v_add_co_u32_e32 v0, vcc, v84, v0
	v_addc_co_u32_e32 v1, vcc, v85, v1, vcc
	v_fma_f64 v[22:23], v[22:23], v[66:67], v[28:29]
	global_store_dwordx4 v[0:1], v[6:9], off
	ds_read_b128 v[6:9], v255 offset:19712
	v_mul_f64 v[24:25], v[24:25], s[0:1]
	v_mov_b32_e32 v28, 0xe00
	s_waitcnt vmcnt(7) lgkmcnt(1)
	v_mul_f64 v[0:1], v[12:13], v[4:5]
	v_mul_f64 v[4:5], v[10:11], v[4:5]
	v_mad_u64_u32 v[26:27], s[6:7], s4, v28, v[26:27]
	v_mul_f64 v[22:23], v[22:23], s[0:1]
	s_mul_i32 s4, s5, 0xe00
	v_add_u32_e32 v27, s4, v27
	v_fma_f64 v[0:1], v[10:11], v[2:3], v[0:1]
	v_fma_f64 v[2:3], v[2:3], v[12:13], -v[4:5]
	s_waitcnt vmcnt(5) lgkmcnt(0)
	v_mul_f64 v[4:5], v[8:9], v[16:17]
	v_mul_f64 v[10:11], v[6:7], v[16:17]
	;; [unrolled: 1-line block ×4, first 2 shown]
	v_mov_b32_e32 v20, s3
	global_store_dwordx4 v[26:27], v[22:25], off
	v_mul_f64 v[0:1], v[0:1], s[0:1]
	v_mul_f64 v[2:3], v[2:3], s[0:1]
	v_fma_f64 v[4:5], v[6:7], v[14:15], v[4:5]
	v_fma_f64 v[6:7], v[14:15], v[8:9], -v[10:11]
	v_fma_f64 v[8:9], v[46:47], v[18:19], v[12:13]
	v_fma_f64 v[10:11], v[18:19], v[48:49], -v[16:17]
	v_add_co_u32_e32 v12, vcc, s2, v26
	v_addc_co_u32_e32 v13, vcc, v27, v20, vcc
	global_store_dwordx4 v[12:13], v[0:3], off
	v_mov_b32_e32 v14, s3
	v_mul_f64 v[0:1], v[4:5], s[0:1]
	v_mul_f64 v[2:3], v[6:7], s[0:1]
	;; [unrolled: 1-line block ×4, first 2 shown]
	v_add_co_u32_e32 v8, vcc, s2, v12
	v_addc_co_u32_e32 v9, vcc, v13, v14, vcc
	global_store_dwordx4 v[8:9], v[0:3], off
	s_nop 0
	v_mov_b32_e32 v1, s3
	v_add_co_u32_e32 v0, vcc, s2, v8
	v_addc_co_u32_e32 v1, vcc, v9, v1, vcc
	global_store_dwordx4 v[0:1], v[4:7], off
.LBB0_23:
	s_endpgm
	.section	.rodata,"a",@progbits
	.p2align	6, 0x0
	.amdhsa_kernel bluestein_single_back_len1456_dim1_dp_op_CI_CI
		.amdhsa_group_segment_fixed_size 23296
		.amdhsa_private_segment_fixed_size 516
		.amdhsa_kernarg_size 104
		.amdhsa_user_sgpr_count 6
		.amdhsa_user_sgpr_private_segment_buffer 1
		.amdhsa_user_sgpr_dispatch_ptr 0
		.amdhsa_user_sgpr_queue_ptr 0
		.amdhsa_user_sgpr_kernarg_segment_ptr 1
		.amdhsa_user_sgpr_dispatch_id 0
		.amdhsa_user_sgpr_flat_scratch_init 0
		.amdhsa_user_sgpr_private_segment_size 0
		.amdhsa_uses_dynamic_stack 0
		.amdhsa_system_sgpr_private_segment_wavefront_offset 1
		.amdhsa_system_sgpr_workgroup_id_x 1
		.amdhsa_system_sgpr_workgroup_id_y 0
		.amdhsa_system_sgpr_workgroup_id_z 0
		.amdhsa_system_sgpr_workgroup_info 0
		.amdhsa_system_vgpr_workitem_id 0
		.amdhsa_next_free_vgpr 256
		.amdhsa_next_free_sgpr 56
		.amdhsa_reserve_vcc 1
		.amdhsa_reserve_flat_scratch 0
		.amdhsa_float_round_mode_32 0
		.amdhsa_float_round_mode_16_64 0
		.amdhsa_float_denorm_mode_32 3
		.amdhsa_float_denorm_mode_16_64 3
		.amdhsa_dx10_clamp 1
		.amdhsa_ieee_mode 1
		.amdhsa_fp16_overflow 0
		.amdhsa_exception_fp_ieee_invalid_op 0
		.amdhsa_exception_fp_denorm_src 0
		.amdhsa_exception_fp_ieee_div_zero 0
		.amdhsa_exception_fp_ieee_overflow 0
		.amdhsa_exception_fp_ieee_underflow 0
		.amdhsa_exception_fp_ieee_inexact 0
		.amdhsa_exception_int_div_zero 0
	.end_amdhsa_kernel
	.text
.Lfunc_end0:
	.size	bluestein_single_back_len1456_dim1_dp_op_CI_CI, .Lfunc_end0-bluestein_single_back_len1456_dim1_dp_op_CI_CI
                                        ; -- End function
	.section	.AMDGPU.csdata,"",@progbits
; Kernel info:
; codeLenInByte = 22696
; NumSgprs: 60
; NumVgprs: 256
; ScratchSize: 516
; MemoryBound: 0
; FloatMode: 240
; IeeeMode: 1
; LDSByteSize: 23296 bytes/workgroup (compile time only)
; SGPRBlocks: 7
; VGPRBlocks: 63
; NumSGPRsForWavesPerEU: 60
; NumVGPRsForWavesPerEU: 256
; Occupancy: 1
; WaveLimiterHint : 1
; COMPUTE_PGM_RSRC2:SCRATCH_EN: 1
; COMPUTE_PGM_RSRC2:USER_SGPR: 6
; COMPUTE_PGM_RSRC2:TRAP_HANDLER: 0
; COMPUTE_PGM_RSRC2:TGID_X_EN: 1
; COMPUTE_PGM_RSRC2:TGID_Y_EN: 0
; COMPUTE_PGM_RSRC2:TGID_Z_EN: 0
; COMPUTE_PGM_RSRC2:TIDIG_COMP_CNT: 0
	.type	__hip_cuid_c90831cfd9962dd3,@object ; @__hip_cuid_c90831cfd9962dd3
	.section	.bss,"aw",@nobits
	.globl	__hip_cuid_c90831cfd9962dd3
__hip_cuid_c90831cfd9962dd3:
	.byte	0                               ; 0x0
	.size	__hip_cuid_c90831cfd9962dd3, 1

	.ident	"AMD clang version 19.0.0git (https://github.com/RadeonOpenCompute/llvm-project roc-6.4.0 25133 c7fe45cf4b819c5991fe208aaa96edf142730f1d)"
	.section	".note.GNU-stack","",@progbits
	.addrsig
	.addrsig_sym __hip_cuid_c90831cfd9962dd3
	.amdgpu_metadata
---
amdhsa.kernels:
  - .args:
      - .actual_access:  read_only
        .address_space:  global
        .offset:         0
        .size:           8
        .value_kind:     global_buffer
      - .actual_access:  read_only
        .address_space:  global
        .offset:         8
        .size:           8
        .value_kind:     global_buffer
      - .actual_access:  read_only
        .address_space:  global
        .offset:         16
        .size:           8
        .value_kind:     global_buffer
      - .actual_access:  read_only
        .address_space:  global
        .offset:         24
        .size:           8
        .value_kind:     global_buffer
      - .actual_access:  read_only
        .address_space:  global
        .offset:         32
        .size:           8
        .value_kind:     global_buffer
      - .offset:         40
        .size:           8
        .value_kind:     by_value
      - .address_space:  global
        .offset:         48
        .size:           8
        .value_kind:     global_buffer
      - .address_space:  global
        .offset:         56
        .size:           8
        .value_kind:     global_buffer
      - .address_space:  global
        .offset:         64
        .size:           8
        .value_kind:     global_buffer
      - .address_space:  global
        .offset:         72
        .size:           8
        .value_kind:     global_buffer
      - .offset:         80
        .size:           4
        .value_kind:     by_value
      - .address_space:  global
        .offset:         88
        .size:           8
        .value_kind:     global_buffer
      - .address_space:  global
        .offset:         96
        .size:           8
        .value_kind:     global_buffer
    .group_segment_fixed_size: 23296
    .kernarg_segment_align: 8
    .kernarg_segment_size: 104
    .language:       OpenCL C
    .language_version:
      - 2
      - 0
    .max_flat_workgroup_size: 182
    .name:           bluestein_single_back_len1456_dim1_dp_op_CI_CI
    .private_segment_fixed_size: 516
    .sgpr_count:     60
    .sgpr_spill_count: 0
    .symbol:         bluestein_single_back_len1456_dim1_dp_op_CI_CI.kd
    .uniform_work_group_size: 1
    .uses_dynamic_stack: false
    .vgpr_count:     256
    .vgpr_spill_count: 140
    .wavefront_size: 64
amdhsa.target:   amdgcn-amd-amdhsa--gfx906
amdhsa.version:
  - 1
  - 2
...

	.end_amdgpu_metadata
